;; amdgpu-corpus repo=ROCm/rocFFT kind=compiled arch=gfx1201 opt=O3
	.text
	.amdgcn_target "amdgcn-amd-amdhsa--gfx1201"
	.amdhsa_code_object_version 6
	.protected	fft_rtc_back_len546_factors_13_3_7_2_wgs_117_tpt_39_halfLds_sp_op_CI_CI_unitstride_sbrr_R2C_dirReg ; -- Begin function fft_rtc_back_len546_factors_13_3_7_2_wgs_117_tpt_39_halfLds_sp_op_CI_CI_unitstride_sbrr_R2C_dirReg
	.globl	fft_rtc_back_len546_factors_13_3_7_2_wgs_117_tpt_39_halfLds_sp_op_CI_CI_unitstride_sbrr_R2C_dirReg
	.p2align	8
	.type	fft_rtc_back_len546_factors_13_3_7_2_wgs_117_tpt_39_halfLds_sp_op_CI_CI_unitstride_sbrr_R2C_dirReg,@function
fft_rtc_back_len546_factors_13_3_7_2_wgs_117_tpt_39_halfLds_sp_op_CI_CI_unitstride_sbrr_R2C_dirReg: ; @fft_rtc_back_len546_factors_13_3_7_2_wgs_117_tpt_39_halfLds_sp_op_CI_CI_unitstride_sbrr_R2C_dirReg
; %bb.0:
	s_load_b128 s[8:11], s[0:1], 0x0
	v_mul_u32_u24_e32 v1, 0x691, v0
	s_clause 0x1
	s_load_b128 s[4:7], s[0:1], 0x58
	s_load_b128 s[12:15], s[0:1], 0x18
	v_mov_b32_e32 v5, 0
	v_lshrrev_b32_e32 v3, 16, v1
	v_mov_b32_e32 v1, 0
	v_mov_b32_e32 v2, 0
	s_delay_alu instid0(VALU_DEP_3) | instskip(NEXT) | instid1(VALU_DEP_2)
	v_mad_co_u64_u32 v[3:4], null, ttmp9, 3, v[3:4]
	v_dual_mov_b32 v4, v5 :: v_dual_mov_b32 v49, v2
	s_delay_alu instid0(VALU_DEP_1) | instskip(NEXT) | instid1(VALU_DEP_3)
	v_dual_mov_b32 v48, v1 :: v_dual_mov_b32 v53, v4
	v_mov_b32_e32 v52, v3
	s_wait_kmcnt 0x0
	v_cmp_lt_u64_e64 s2, s[10:11], 2
	s_delay_alu instid0(VALU_DEP_1)
	s_and_b32 vcc_lo, exec_lo, s2
	s_cbranch_vccnz .LBB0_8
; %bb.1:
	s_load_b64 s[2:3], s[0:1], 0x10
	v_dual_mov_b32 v1, 0 :: v_dual_mov_b32 v8, v4
	v_dual_mov_b32 v2, 0 :: v_dual_mov_b32 v7, v3
	s_add_nc_u64 s[16:17], s[14:15], 8
	s_add_nc_u64 s[18:19], s[12:13], 8
	s_mov_b64 s[20:21], 1
	s_delay_alu instid0(VALU_DEP_1)
	v_dual_mov_b32 v49, v2 :: v_dual_mov_b32 v48, v1
	s_wait_kmcnt 0x0
	s_add_nc_u64 s[22:23], s[2:3], 8
	s_mov_b32 s3, 0
.LBB0_2:                                ; =>This Inner Loop Header: Depth=1
	s_load_b64 s[24:25], s[22:23], 0x0
                                        ; implicit-def: $vgpr52_vgpr53
	s_mov_b32 s2, exec_lo
	s_wait_kmcnt 0x0
	v_or_b32_e32 v6, s25, v8
	s_delay_alu instid0(VALU_DEP_1)
	v_cmpx_ne_u64_e32 0, v[5:6]
	s_wait_alu 0xfffe
	s_xor_b32 s26, exec_lo, s2
	s_cbranch_execz .LBB0_4
; %bb.3:                                ;   in Loop: Header=BB0_2 Depth=1
	s_cvt_f32_u32 s2, s24
	s_cvt_f32_u32 s27, s25
	s_sub_nc_u64 s[30:31], 0, s[24:25]
	s_wait_alu 0xfffe
	s_delay_alu instid0(SALU_CYCLE_1) | instskip(SKIP_1) | instid1(SALU_CYCLE_2)
	s_fmamk_f32 s2, s27, 0x4f800000, s2
	s_wait_alu 0xfffe
	v_s_rcp_f32 s2, s2
	s_delay_alu instid0(TRANS32_DEP_1) | instskip(SKIP_1) | instid1(SALU_CYCLE_2)
	s_mul_f32 s2, s2, 0x5f7ffffc
	s_wait_alu 0xfffe
	s_mul_f32 s27, s2, 0x2f800000
	s_wait_alu 0xfffe
	s_delay_alu instid0(SALU_CYCLE_2) | instskip(SKIP_1) | instid1(SALU_CYCLE_2)
	s_trunc_f32 s27, s27
	s_wait_alu 0xfffe
	s_fmamk_f32 s2, s27, 0xcf800000, s2
	s_cvt_u32_f32 s29, s27
	s_wait_alu 0xfffe
	s_delay_alu instid0(SALU_CYCLE_1) | instskip(SKIP_1) | instid1(SALU_CYCLE_2)
	s_cvt_u32_f32 s28, s2
	s_wait_alu 0xfffe
	s_mul_u64 s[34:35], s[30:31], s[28:29]
	s_wait_alu 0xfffe
	s_mul_hi_u32 s37, s28, s35
	s_mul_i32 s36, s28, s35
	s_mul_hi_u32 s2, s28, s34
	s_mul_i32 s33, s29, s34
	s_wait_alu 0xfffe
	s_add_nc_u64 s[36:37], s[2:3], s[36:37]
	s_mul_hi_u32 s27, s29, s34
	s_mul_hi_u32 s38, s29, s35
	s_add_co_u32 s2, s36, s33
	s_wait_alu 0xfffe
	s_add_co_ci_u32 s2, s37, s27
	s_mul_i32 s34, s29, s35
	s_add_co_ci_u32 s35, s38, 0
	s_wait_alu 0xfffe
	s_add_nc_u64 s[34:35], s[2:3], s[34:35]
	s_wait_alu 0xfffe
	v_add_co_u32 v4, s2, s28, s34
	s_delay_alu instid0(VALU_DEP_1) | instskip(SKIP_1) | instid1(VALU_DEP_1)
	s_cmp_lg_u32 s2, 0
	s_add_co_ci_u32 s29, s29, s35
	v_readfirstlane_b32 s28, v4
	s_wait_alu 0xfffe
	s_delay_alu instid0(VALU_DEP_1)
	s_mul_u64 s[30:31], s[30:31], s[28:29]
	s_wait_alu 0xfffe
	s_mul_hi_u32 s35, s28, s31
	s_mul_i32 s34, s28, s31
	s_mul_hi_u32 s2, s28, s30
	s_mul_i32 s33, s29, s30
	s_wait_alu 0xfffe
	s_add_nc_u64 s[34:35], s[2:3], s[34:35]
	s_mul_hi_u32 s27, s29, s30
	s_mul_hi_u32 s28, s29, s31
	s_wait_alu 0xfffe
	s_add_co_u32 s2, s34, s33
	s_add_co_ci_u32 s2, s35, s27
	s_mul_i32 s30, s29, s31
	s_add_co_ci_u32 s31, s28, 0
	s_wait_alu 0xfffe
	s_add_nc_u64 s[30:31], s[2:3], s[30:31]
	s_wait_alu 0xfffe
	v_add_co_u32 v4, s2, v4, s30
	s_delay_alu instid0(VALU_DEP_1) | instskip(SKIP_1) | instid1(VALU_DEP_1)
	s_cmp_lg_u32 s2, 0
	s_add_co_ci_u32 s2, s29, s31
	v_mul_hi_u32 v6, v7, v4
	s_wait_alu 0xfffe
	v_mad_co_u64_u32 v[9:10], null, v7, s2, 0
	v_mad_co_u64_u32 v[11:12], null, v8, v4, 0
	;; [unrolled: 1-line block ×3, first 2 shown]
	s_delay_alu instid0(VALU_DEP_3) | instskip(SKIP_1) | instid1(VALU_DEP_4)
	v_add_co_u32 v4, vcc_lo, v6, v9
	s_wait_alu 0xfffd
	v_add_co_ci_u32_e32 v6, vcc_lo, 0, v10, vcc_lo
	s_delay_alu instid0(VALU_DEP_2) | instskip(SKIP_1) | instid1(VALU_DEP_2)
	v_add_co_u32 v4, vcc_lo, v4, v11
	s_wait_alu 0xfffd
	v_add_co_ci_u32_e32 v4, vcc_lo, v6, v12, vcc_lo
	s_wait_alu 0xfffd
	v_add_co_ci_u32_e32 v6, vcc_lo, 0, v14, vcc_lo
	s_delay_alu instid0(VALU_DEP_2) | instskip(SKIP_1) | instid1(VALU_DEP_2)
	v_add_co_u32 v4, vcc_lo, v4, v13
	s_wait_alu 0xfffd
	v_add_co_ci_u32_e32 v6, vcc_lo, 0, v6, vcc_lo
	s_delay_alu instid0(VALU_DEP_2) | instskip(SKIP_1) | instid1(VALU_DEP_3)
	v_mul_lo_u32 v11, s25, v4
	v_mad_co_u64_u32 v[9:10], null, s24, v4, 0
	v_mul_lo_u32 v12, s24, v6
	s_delay_alu instid0(VALU_DEP_2) | instskip(NEXT) | instid1(VALU_DEP_2)
	v_sub_co_u32 v9, vcc_lo, v7, v9
	v_add3_u32 v10, v10, v12, v11
	s_delay_alu instid0(VALU_DEP_1) | instskip(SKIP_1) | instid1(VALU_DEP_1)
	v_sub_nc_u32_e32 v11, v8, v10
	s_wait_alu 0xfffd
	v_subrev_co_ci_u32_e64 v11, s2, s25, v11, vcc_lo
	v_add_co_u32 v12, s2, v4, 2
	s_wait_alu 0xf1ff
	v_add_co_ci_u32_e64 v13, s2, 0, v6, s2
	v_sub_co_u32 v14, s2, v9, s24
	v_sub_co_ci_u32_e32 v10, vcc_lo, v8, v10, vcc_lo
	s_wait_alu 0xf1ff
	v_subrev_co_ci_u32_e64 v11, s2, 0, v11, s2
	s_delay_alu instid0(VALU_DEP_3) | instskip(NEXT) | instid1(VALU_DEP_3)
	v_cmp_le_u32_e32 vcc_lo, s24, v14
	v_cmp_eq_u32_e64 s2, s25, v10
	s_wait_alu 0xfffd
	v_cndmask_b32_e64 v14, 0, -1, vcc_lo
	v_cmp_le_u32_e32 vcc_lo, s25, v11
	s_wait_alu 0xfffd
	v_cndmask_b32_e64 v15, 0, -1, vcc_lo
	v_cmp_le_u32_e32 vcc_lo, s24, v9
	;; [unrolled: 3-line block ×3, first 2 shown]
	s_wait_alu 0xfffd
	v_cndmask_b32_e64 v16, 0, -1, vcc_lo
	v_cmp_eq_u32_e32 vcc_lo, s25, v11
	s_wait_alu 0xf1ff
	s_delay_alu instid0(VALU_DEP_2)
	v_cndmask_b32_e64 v9, v16, v9, s2
	s_wait_alu 0xfffd
	v_cndmask_b32_e32 v11, v15, v14, vcc_lo
	v_add_co_u32 v14, vcc_lo, v4, 1
	s_wait_alu 0xfffd
	v_add_co_ci_u32_e32 v15, vcc_lo, 0, v6, vcc_lo
	s_delay_alu instid0(VALU_DEP_3) | instskip(SKIP_1) | instid1(VALU_DEP_2)
	v_cmp_ne_u32_e32 vcc_lo, 0, v11
	s_wait_alu 0xfffd
	v_dual_cndmask_b32 v10, v15, v13 :: v_dual_cndmask_b32 v11, v14, v12
	v_cmp_ne_u32_e32 vcc_lo, 0, v9
	s_wait_alu 0xfffd
	s_delay_alu instid0(VALU_DEP_2)
	v_dual_cndmask_b32 v53, v6, v10 :: v_dual_cndmask_b32 v52, v4, v11
.LBB0_4:                                ;   in Loop: Header=BB0_2 Depth=1
	s_wait_alu 0xfffe
	s_and_not1_saveexec_b32 s2, s26
	s_cbranch_execz .LBB0_6
; %bb.5:                                ;   in Loop: Header=BB0_2 Depth=1
	v_cvt_f32_u32_e32 v4, s24
	s_sub_co_i32 s26, 0, s24
	v_mov_b32_e32 v53, v5
	s_delay_alu instid0(VALU_DEP_2) | instskip(NEXT) | instid1(TRANS32_DEP_1)
	v_rcp_iflag_f32_e32 v4, v4
	v_mul_f32_e32 v4, 0x4f7ffffe, v4
	s_delay_alu instid0(VALU_DEP_1) | instskip(SKIP_1) | instid1(VALU_DEP_1)
	v_cvt_u32_f32_e32 v4, v4
	s_wait_alu 0xfffe
	v_mul_lo_u32 v6, s26, v4
	s_delay_alu instid0(VALU_DEP_1) | instskip(NEXT) | instid1(VALU_DEP_1)
	v_mul_hi_u32 v6, v4, v6
	v_add_nc_u32_e32 v4, v4, v6
	s_delay_alu instid0(VALU_DEP_1) | instskip(NEXT) | instid1(VALU_DEP_1)
	v_mul_hi_u32 v4, v7, v4
	v_mul_lo_u32 v6, v4, s24
	s_delay_alu instid0(VALU_DEP_1) | instskip(NEXT) | instid1(VALU_DEP_1)
	v_sub_nc_u32_e32 v6, v7, v6
	v_subrev_nc_u32_e32 v10, s24, v6
	v_cmp_le_u32_e32 vcc_lo, s24, v6
	s_wait_alu 0xfffd
	s_delay_alu instid0(VALU_DEP_2) | instskip(NEXT) | instid1(VALU_DEP_1)
	v_dual_cndmask_b32 v6, v6, v10 :: v_dual_add_nc_u32 v9, 1, v4
	v_cndmask_b32_e32 v4, v4, v9, vcc_lo
	s_delay_alu instid0(VALU_DEP_2) | instskip(NEXT) | instid1(VALU_DEP_2)
	v_cmp_le_u32_e32 vcc_lo, s24, v6
	v_add_nc_u32_e32 v9, 1, v4
	s_wait_alu 0xfffd
	s_delay_alu instid0(VALU_DEP_1)
	v_cndmask_b32_e32 v52, v4, v9, vcc_lo
.LBB0_6:                                ;   in Loop: Header=BB0_2 Depth=1
	s_wait_alu 0xfffe
	s_or_b32 exec_lo, exec_lo, s2
	v_mul_lo_u32 v4, v53, s24
	s_delay_alu instid0(VALU_DEP_2)
	v_mul_lo_u32 v6, v52, s25
	s_load_b64 s[26:27], s[18:19], 0x0
	v_mad_co_u64_u32 v[9:10], null, v52, s24, 0
	s_load_b64 s[24:25], s[16:17], 0x0
	s_add_nc_u64 s[20:21], s[20:21], 1
	s_add_nc_u64 s[16:17], s[16:17], 8
	s_wait_alu 0xfffe
	v_cmp_ge_u64_e64 s2, s[20:21], s[10:11]
	s_add_nc_u64 s[18:19], s[18:19], 8
	s_add_nc_u64 s[22:23], s[22:23], 8
	v_add3_u32 v4, v10, v6, v4
	v_sub_co_u32 v6, vcc_lo, v7, v9
	s_wait_alu 0xfffd
	s_delay_alu instid0(VALU_DEP_2) | instskip(SKIP_2) | instid1(VALU_DEP_1)
	v_sub_co_ci_u32_e32 v4, vcc_lo, v8, v4, vcc_lo
	s_and_b32 vcc_lo, exec_lo, s2
	s_wait_kmcnt 0x0
	v_mul_lo_u32 v7, s26, v4
	v_mul_lo_u32 v8, s27, v6
	v_mad_co_u64_u32 v[1:2], null, s26, v6, v[1:2]
	v_mul_lo_u32 v4, s24, v4
	v_mul_lo_u32 v9, s25, v6
	v_mad_co_u64_u32 v[48:49], null, s24, v6, v[48:49]
	s_delay_alu instid0(VALU_DEP_4) | instskip(NEXT) | instid1(VALU_DEP_2)
	v_add3_u32 v2, v8, v2, v7
	v_add3_u32 v49, v9, v49, v4
	s_wait_alu 0xfffe
	s_cbranch_vccnz .LBB0_8
; %bb.7:                                ;   in Loop: Header=BB0_2 Depth=1
	v_dual_mov_b32 v7, v52 :: v_dual_mov_b32 v8, v53
	s_branch .LBB0_2
.LBB0_8:
	s_load_b64 s[0:1], s[0:1], 0x28
	v_mul_hi_u32 v4, 0xaaaaaaab, v3
	s_lshl_b64 s[10:11], s[10:11], 3
                                        ; implicit-def: $vgpr50
                                        ; implicit-def: $vgpr54
	s_delay_alu instid0(VALU_DEP_1) | instskip(NEXT) | instid1(VALU_DEP_1)
	v_lshrrev_b32_e32 v4, 1, v4
	v_lshl_add_u32 v5, v4, 1, v4
	v_mul_hi_u32 v4, 0x6906907, v0
	s_delay_alu instid0(VALU_DEP_2) | instskip(SKIP_3) | instid1(VALU_DEP_1)
	v_sub_nc_u32_e32 v3, v3, v5
	s_wait_kmcnt 0x0
	v_cmp_gt_u64_e32 vcc_lo, s[0:1], v[52:53]
	v_cmp_le_u64_e64 s0, s[0:1], v[52:53]
	s_and_saveexec_b32 s1, s0
	s_wait_alu 0xfffe
	s_xor_b32 s0, exec_lo, s1
; %bb.9:
	v_mul_u32_u24_e32 v1, 39, v4
                                        ; implicit-def: $vgpr4
	s_delay_alu instid0(VALU_DEP_1) | instskip(NEXT) | instid1(VALU_DEP_1)
	v_sub_nc_u32_e32 v50, v0, v1
                                        ; implicit-def: $vgpr0
                                        ; implicit-def: $vgpr1_vgpr2
	v_add_nc_u32_e32 v54, 39, v50
; %bb.10:
	s_wait_alu 0xfffe
	s_or_saveexec_b32 s1, s0
	v_mul_u32_u24_e32 v63, 0x223, v3
	s_add_nc_u64 s[2:3], s[14:15], s[10:11]
	s_delay_alu instid0(VALU_DEP_1)
	v_lshlrev_b32_e32 v51, 3, v63
	s_wait_alu 0xfffe
	s_xor_b32 exec_lo, exec_lo, s1
	s_cbranch_execz .LBB0_12
; %bb.11:
	s_add_nc_u64 s[10:11], s[12:13], s[10:11]
	v_lshlrev_b64_e32 v[1:2], 3, v[1:2]
	s_load_b64 s[10:11], s[10:11], 0x0
	s_wait_kmcnt 0x0
	v_mul_lo_u32 v3, s11, v52
	v_mul_lo_u32 v7, s10, v53
	v_mad_co_u64_u32 v[5:6], null, s10, v52, 0
	s_delay_alu instid0(VALU_DEP_1) | instskip(SKIP_1) | instid1(VALU_DEP_2)
	v_add3_u32 v6, v6, v7, v3
	v_mul_u32_u24_e32 v7, 39, v4
	v_lshlrev_b64_e32 v[3:4], 3, v[5:6]
	s_delay_alu instid0(VALU_DEP_2) | instskip(NEXT) | instid1(VALU_DEP_1)
	v_sub_nc_u32_e32 v50, v0, v7
	v_lshlrev_b32_e32 v28, 3, v50
	s_delay_alu instid0(VALU_DEP_3) | instskip(SKIP_1) | instid1(VALU_DEP_4)
	v_add_co_u32 v0, s0, s4, v3
	s_wait_alu 0xf1ff
	v_add_co_ci_u32_e64 v3, s0, s5, v4, s0
	v_add_nc_u32_e32 v54, 39, v50
	s_delay_alu instid0(VALU_DEP_3) | instskip(SKIP_1) | instid1(VALU_DEP_3)
	v_add_co_u32 v0, s0, v0, v1
	s_wait_alu 0xf1ff
	v_add_co_ci_u32_e64 v1, s0, v3, v2, s0
	s_delay_alu instid0(VALU_DEP_2) | instskip(SKIP_1) | instid1(VALU_DEP_2)
	v_add_co_u32 v0, s0, v0, v28
	s_wait_alu 0xf1ff
	v_add_co_ci_u32_e64 v1, s0, 0, v1, s0
	s_clause 0xd
	global_load_b64 v[2:3], v[0:1], off
	global_load_b64 v[4:5], v[0:1], off offset:312
	global_load_b64 v[6:7], v[0:1], off offset:624
	;; [unrolled: 1-line block ×13, first 2 shown]
	v_add3_u32 v28, 0, v51, v28
	s_delay_alu instid0(VALU_DEP_1)
	v_add_nc_u32_e32 v29, 0x400, v28
	v_add_nc_u32_e32 v30, 0x800, v28
	s_wait_loadcnt 0xc
	ds_store_2addr_b64 v28, v[2:3], v[4:5] offset1:39
	s_wait_loadcnt 0xa
	ds_store_2addr_b64 v28, v[6:7], v[8:9] offset0:78 offset1:117
	s_wait_loadcnt 0x8
	ds_store_2addr_b64 v28, v[10:11], v[12:13] offset0:156 offset1:195
	;; [unrolled: 2-line block ×6, first 2 shown]
.LBB0_12:
	s_or_b32 exec_lo, exec_lo, s1
	v_lshlrev_b32_e32 v61, 3, v50
	v_add_nc_u32_e32 v59, 0, v51
	s_load_b64 s[2:3], s[2:3], 0x0
	global_wb scope:SCOPE_SE
	s_wait_dscnt 0x0
	s_wait_kmcnt 0x0
	s_barrier_signal -1
	v_add_nc_u32_e32 v64, 0, v61
	v_add_nc_u32_e32 v60, v59, v61
	s_barrier_wait -1
	global_inv scope:SCOPE_SE
	s_mov_b32 s1, exec_lo
	v_add_nc_u32_e32 v62, v64, v51
	ds_load_2addr_b64 v[0:3], v62 offset0:39 offset1:42
	ds_load_b64 v[57:58], v60
	s_wait_dscnt 0x0
	v_add_f32_e32 v67, v58, v3
	v_add_nc_u32_e32 v65, 0x800, v62
	v_add_f32_e32 v66, v57, v2
	ds_load_2addr_b64 v[32:35], v62 offset0:81 offset1:84
	ds_load_2addr_b64 v[4:7], v65 offset0:245 offset1:248
	;; [unrolled: 1-line block ×8, first 2 shown]
	ds_load_b64 v[55:56], v62 offset:4344
	ds_load_2addr_b64 v[8:11], v65 offset0:35 offset1:38
	ds_load_2addr_b64 v[12:15], v65 offset0:77 offset1:80
	s_wait_dscnt 0xa
	v_add_f32_e32 v72, v67, v35
	v_dual_add_f32 v68, v0, v32 :: v_dual_add_f32 v69, v1, v33
	s_wait_dscnt 0x9
	v_dual_add_f32 v70, v66, v34 :: v_dual_add_f32 v79, v7, v3
	v_dual_add_f32 v78, v6, v2 :: v_dual_sub_f32 v3, v3, v7
	s_wait_dscnt 0x8
	v_dual_sub_f32 v2, v2, v6 :: v_dual_add_f32 v75, v19, v35
	v_add_f32_e32 v71, v18, v34
	v_dual_sub_f32 v73, v34, v18 :: v_dual_sub_f32 v76, v35, v19
	s_wait_dscnt 0x7
	v_dual_add_f32 v34, v68, v24 :: v_dual_add_f32 v35, v69, v25
	v_dual_add_f32 v68, v70, v26 :: v_dual_add_f32 v69, v72, v27
	v_mul_f32_e32 v70, 0xbeedf032, v3
	s_wait_dscnt 0x6
	s_delay_alu instid0(VALU_DEP_3) | instskip(NEXT) | instid1(VALU_DEP_3)
	v_dual_mul_f32 v81, 0xbf29c268, v3 :: v_dual_add_f32 v34, v34, v20
	v_dual_add_f32 v68, v68, v22 :: v_dual_add_f32 v69, v69, v23
	v_dual_add_f32 v35, v35, v21 :: v_dual_mul_f32 v72, 0xbf52af12, v3
	ds_load_2addr_b64 v[28:31], v65 offset0:161 offset1:164
	s_wait_dscnt 0x6
	v_dual_add_f32 v68, v68, v38 :: v_dual_add_f32 v69, v69, v39
	v_dual_fmamk_f32 v82, v78, 0x3f62ad3f, v70 :: v_dual_add_f32 v35, v35, v37
	v_mul_f32_e32 v74, 0xbf7e222b, v3
	s_wait_dscnt 0x4
	s_delay_alu instid0(VALU_DEP_3) | instskip(NEXT) | instid1(VALU_DEP_3)
	v_dual_add_f32 v34, v34, v36 :: v_dual_add_f32 v69, v69, v43
	v_dual_add_f32 v68, v68, v42 :: v_dual_add_f32 v35, v35, v41
	;; [unrolled: 1-line block ×3, first 2 shown]
	s_wait_dscnt 0x2
	s_delay_alu instid0(VALU_DEP_2) | instskip(NEXT) | instid1(VALU_DEP_3)
	v_dual_add_f32 v69, v69, v11 :: v_dual_add_f32 v68, v68, v10
	v_dual_add_f32 v35, v35, v9 :: v_dual_add_f32 v34, v34, v40
	v_dual_fmamk_f32 v86, v78, 0x3df6dbef, v74 :: v_dual_sub_f32 v77, v23, v47
	s_wait_dscnt 0x1
	s_delay_alu instid0(VALU_DEP_3)
	v_add_f32_e32 v68, v68, v14
	v_mul_f32_e32 v80, 0xbf6f5d39, v3
	v_mul_f32_e32 v3, 0xbe750f2a, v3
	v_dual_add_f32 v23, v35, v13 :: v_dual_add_f32 v34, v34, v8
	v_dual_sub_f32 v35, v41, v45 :: v_dual_fmamk_f32 v84, v78, 0x3f116cb1, v72
	v_add_f32_e32 v69, v69, v15
	v_fma_f32 v87, 0x3df6dbef, v78, -v74
	v_sub_f32_e32 v74, v22, v46
	v_add_f32_e32 v22, v34, v12
	v_add_f32_e32 v34, v45, v41
	v_dual_add_f32 v92, v69, v47 :: v_dual_add_f32 v69, v14, v38
	v_add_f32_e32 v41, v11, v43
	s_delay_alu instid0(VALU_DEP_4)
	v_add_f32_e32 v47, v22, v44
	v_add_f32_e32 v91, v68, v46
	v_dual_sub_f32 v68, v38, v14 :: v_dual_sub_f32 v43, v43, v11
	v_dual_add_f32 v46, v23, v45 :: v_dual_sub_f32 v23, v32, v55
	v_dual_add_f32 v14, v44, v40 :: v_dual_mul_f32 v45, 0x3f62ad3f, v79
	v_fma_f32 v83, 0x3f62ad3f, v78, -v70
	v_fma_f32 v85, 0x3f116cb1, v78, -v72
	v_add_f32_e32 v70, v15, v39
	v_dual_sub_f32 v72, v39, v15 :: v_dual_sub_f32 v15, v40, v44
	v_dual_add_f32 v40, v10, v42 :: v_dual_mul_f32 v89, 0x3df6dbef, v79
	v_dual_sub_f32 v42, v42, v10 :: v_dual_mul_f32 v93, 0xbeb58ec6, v79
	v_add_f32_e32 v11, v55, v32
	v_dual_add_f32 v39, v56, v33 :: v_dual_sub_f32 v38, v33, v56
	s_wait_dscnt 0x0
	v_add_f32_e32 v10, v28, v36
	v_dual_add_f32 v32, v29, v37 :: v_dual_mul_f32 v95, 0xbf3f9e67, v79
	v_dual_sub_f32 v22, v36, v28 :: v_dual_sub_f32 v33, v37, v29
	v_fmamk_f32 v36, v78, 0xbeb58ec6, v80
	v_fma_f32 v37, 0xbeb58ec6, v78, -v80
	v_dual_fmamk_f32 v44, v78, 0xbf3f9e67, v81 :: v_dual_add_f32 v85, v57, v85
	v_fma_f32 v80, 0xbf3f9e67, v78, -v81
	v_fmamk_f32 v81, v78, 0xbf788fa5, v3
	v_fma_f32 v3, 0xbf788fa5, v78, -v3
	v_dual_fmamk_f32 v78, v2, 0x3eedf032, v45 :: v_dual_add_f32 v87, v57, v87
	v_fmac_f32_e32 v45, 0xbeedf032, v2
	v_mul_f32_e32 v88, 0x3f116cb1, v79
	v_dual_fmamk_f32 v94, v2, 0x3f7e222b, v89 :: v_dual_sub_f32 v99, v27, v31
	v_fmac_f32_e32 v89, 0xbf7e222b, v2
	v_mul_f32_e32 v79, 0xbf788fa5, v79
	v_dual_fmamk_f32 v96, v2, 0x3f6f5d39, v93 :: v_dual_add_f32 v27, v31, v27
	v_fmac_f32_e32 v93, 0xbf6f5d39, v2
	v_add_f32_e32 v45, v58, v45
	v_dual_fmamk_f32 v90, v2, 0x3f52af12, v88 :: v_dual_add_f32 v37, v57, v37
	v_dual_fmac_f32 v88, 0xbf52af12, v2 :: v_dual_add_f32 v89, v58, v89
	v_dual_fmamk_f32 v97, v2, 0x3f29c268, v95 :: v_dual_add_f32 v86, v57, v86
	s_delay_alu instid0(VALU_DEP_2)
	v_dual_fmac_f32 v95, 0xbf29c268, v2 :: v_dual_add_f32 v88, v58, v88
	v_dual_fmamk_f32 v98, v2, 0x3e750f2a, v79 :: v_dual_add_f32 v107, v57, v81
	v_fmac_f32_e32 v79, 0xbe750f2a, v2
	v_add_f32_e32 v2, v57, v82
	v_add_f32_e32 v82, v57, v83
	;; [unrolled: 1-line block ×4, first 2 shown]
	v_dual_add_f32 v84, v58, v90 :: v_dual_mul_f32 v103, 0xbf7e222b, v99
	v_dual_add_f32 v90, v58, v94 :: v_dual_mul_f32 v105, 0x3df6dbef, v27
	;; [unrolled: 1-line block ×3, first 2 shown]
	v_add_f32_e32 v94, v58, v96
	v_mul_f32_e32 v96, 0xbf52af12, v76
	v_dual_add_f32 v78, v58, v78 :: v_dual_mul_f32 v101, 0x3f116cb1, v75
	v_dual_add_f32 v100, v57, v80 :: v_dual_add_f32 v95, v58, v95
	s_delay_alu instid0(VALU_DEP_3)
	v_fmamk_f32 v80, v71, 0x3f116cb1, v96
	v_add_f32_e32 v102, v30, v26
	v_dual_add_f32 v44, v57, v44 :: v_dual_add_f32 v97, v58, v97
	v_sub_f32_e32 v26, v26, v30
	v_dual_mul_f32 v106, 0xbf6f5d39, v77 :: v_dual_add_f32 v57, v57, v3
	v_add_f32_e32 v2, v80, v2
	v_mul_f32_e32 v3, 0xbf3f9e67, v70
	v_add_f32_e32 v98, v58, v98
	v_add_f32_e32 v58, v58, v79
	v_fma_f32 v79, 0x3f116cb1, v71, -v96
	v_fmamk_f32 v80, v73, 0x3f52af12, v101
	v_fmac_f32_e32 v101, 0xbf52af12, v73
	v_fmamk_f32 v104, v102, 0x3df6dbef, v103
	v_fmamk_f32 v81, v66, 0xbeb58ec6, v106
	v_dual_mul_f32 v96, 0xbf788fa5, v41 :: v_dual_add_f32 v79, v79, v82
	s_delay_alu instid0(VALU_DEP_3) | instskip(NEXT) | instid1(VALU_DEP_2)
	v_dual_add_f32 v45, v101, v45 :: v_dual_add_f32 v2, v104, v2
	v_dual_add_f32 v78, v80, v78 :: v_dual_fmamk_f32 v101, v42, 0x3e750f2a, v96
	v_mul_f32_e32 v104, 0xbeb58ec6, v67
	v_fma_f32 v82, 0x3df6dbef, v102, -v103
	s_delay_alu instid0(VALU_DEP_4)
	v_add_f32_e32 v2, v81, v2
	v_dual_fmamk_f32 v81, v69, 0xbf3f9e67, v108 :: v_dual_add_f32 v30, v91, v30
	global_wb scope:SCOPE_SE
	v_add_f32_e32 v82, v82, v79
	s_barrier_signal -1
	v_dual_add_f32 v2, v81, v2 :: v_dual_mul_f32 v81, 0xbe750f2a, v43
	v_fmamk_f32 v80, v26, 0x3f7e222b, v105
	v_fmac_f32_e32 v105, 0xbf7e222b, v26
	s_barrier_wait -1
	global_inv scope:SCOPE_SE
	v_mul_f32_e32 v109, 0x3f116cb1, v70
	v_add_f32_e32 v78, v80, v78
	v_dual_fmamk_f32 v80, v74, 0x3f6f5d39, v104 :: v_dual_add_f32 v45, v105, v45
	v_mul_f32_e32 v105, 0x3f29c268, v77
	v_add_f32_e32 v31, v92, v31
	s_delay_alu instid0(VALU_DEP_3) | instskip(SKIP_2) | instid1(VALU_DEP_4)
	v_dual_add_f32 v29, v46, v29 :: v_dual_add_f32 v78, v80, v78
	v_fmamk_f32 v80, v68, 0x3f29c268, v3
	v_fmac_f32_e32 v3, 0xbf29c268, v68
	v_add_f32_e32 v19, v31, v19
	v_dual_mul_f32 v31, 0x3f62ad3f, v75 :: v_dual_add_f32 v18, v30, v18
	s_delay_alu instid0(VALU_DEP_4) | instskip(SKIP_3) | instid1(VALU_DEP_4)
	v_add_f32_e32 v80, v80, v78
	v_fmamk_f32 v78, v40, 0xbf788fa5, v81
	v_fma_f32 v81, 0xbf788fa5, v40, -v81
	v_dual_add_f32 v7, v19, v7 :: v_dual_add_f32 v46, v17, v21
	v_add_f32_e32 v79, v101, v80
	v_mul_f32_e32 v80, 0xbf6f5d39, v76
	v_fma_f32 v103, 0xbeb58ec6, v66, -v106
	v_mul_f32_e32 v106, 0xbf3f9e67, v67
	s_delay_alu instid0(VALU_DEP_3) | instskip(SKIP_1) | instid1(VALU_DEP_1)
	v_fmamk_f32 v101, v71, 0xbeb58ec6, v80
	v_fmac_f32_e32 v104, 0xbf6f5d39, v74
	v_add_f32_e32 v45, v104, v45
	s_delay_alu instid0(VALU_DEP_1)
	v_dual_add_f32 v3, v3, v45 :: v_dual_add_f32 v78, v78, v2
	v_add_f32_e32 v2, v103, v82
	v_fma_f32 v82, 0xbf3f9e67, v69, -v108
	v_mul_f32_e32 v103, 0xbeb58ec6, v75
	v_add_f32_e32 v45, v101, v83
	v_mul_f32_e32 v101, 0xbf788fa5, v27
	v_mul_f32_e32 v104, 0xbe750f2a, v99
	v_add_f32_e32 v2, v82, v2
	v_fmamk_f32 v82, v73, 0x3f6f5d39, v103
	v_fmac_f32_e32 v103, 0xbf6f5d39, v73
	s_delay_alu instid0(VALU_DEP_3) | instskip(NEXT) | instid1(VALU_DEP_1)
	v_dual_fmamk_f32 v83, v102, 0xbf788fa5, v104 :: v_dual_add_f32 v2, v81, v2
	v_dual_add_f32 v82, v82, v84 :: v_dual_add_f32 v45, v83, v45
	v_fmamk_f32 v83, v26, 0x3e750f2a, v101
	v_fmac_f32_e32 v101, 0xbe750f2a, v26
	v_fmamk_f32 v84, v66, 0xbf3f9e67, v105
	s_delay_alu instid0(VALU_DEP_3) | instskip(NEXT) | instid1(VALU_DEP_2)
	v_dual_add_f32 v82, v83, v82 :: v_dual_fmamk_f32 v83, v74, 0xbf29c268, v106
	v_add_f32_e32 v45, v84, v45
	s_delay_alu instid0(VALU_DEP_2) | instskip(SKIP_2) | instid1(VALU_DEP_2)
	v_add_f32_e32 v81, v83, v82
	v_fmac_f32_e32 v96, 0xbe750f2a, v42
	v_mul_f32_e32 v83, 0x3eedf032, v43
	v_dual_add_f32 v3, v96, v3 :: v_dual_mul_f32 v96, 0x3df6dbef, v70
	s_delay_alu instid0(VALU_DEP_1) | instskip(NEXT) | instid1(VALU_DEP_1)
	v_fmamk_f32 v82, v68, 0xbf7e222b, v96
	v_dual_fmac_f32 v96, 0x3f7e222b, v68 :: v_dual_add_f32 v81, v82, v81
	v_fmac_f32_e32 v106, 0x3f29c268, v74
	v_mul_f32_e32 v108, 0x3f7e222b, v72
	v_fmamk_f32 v82, v40, 0x3f62ad3f, v83
	v_fma_f32 v83, 0x3f62ad3f, v40, -v83
	s_delay_alu instid0(VALU_DEP_3) | instskip(NEXT) | instid1(VALU_DEP_1)
	v_fmamk_f32 v84, v69, 0x3df6dbef, v108
	v_add_f32_e32 v45, v84, v45
	v_fma_f32 v80, 0xbeb58ec6, v71, -v80
	s_delay_alu instid0(VALU_DEP_1) | instskip(SKIP_1) | instid1(VALU_DEP_1)
	v_dual_add_f32 v80, v80, v85 :: v_dual_add_f32 v85, v103, v88
	v_fma_f32 v88, 0xbf788fa5, v102, -v104
	v_dual_add_f32 v85, v101, v85 :: v_dual_add_f32 v88, v88, v80
	v_fma_f32 v101, 0xbf3f9e67, v66, -v105
	v_dual_add_f32 v80, v82, v45 :: v_dual_mul_f32 v45, 0xbe750f2a, v76
	s_delay_alu instid0(VALU_DEP_3) | instskip(NEXT) | instid1(VALU_DEP_3)
	v_add_f32_e32 v85, v106, v85
	v_dual_mul_f32 v105, 0x3eedf032, v77 :: v_dual_add_f32 v82, v101, v88
	v_fma_f32 v88, 0x3df6dbef, v69, -v108
	s_delay_alu instid0(VALU_DEP_4) | instskip(NEXT) | instid1(VALU_DEP_4)
	v_fmamk_f32 v101, v71, 0xbf788fa5, v45
	v_dual_add_f32 v85, v96, v85 :: v_dual_mul_f32 v108, 0xbf52af12, v72
	v_fma_f32 v45, 0xbf788fa5, v71, -v45
	s_delay_alu instid0(VALU_DEP_3) | instskip(SKIP_1) | instid1(VALU_DEP_1)
	v_dual_add_f32 v86, v101, v86 :: v_dual_mul_f32 v101, 0xbeb58ec6, v27
	v_mul_f32_e32 v104, 0x3f6f5d39, v99
	v_dual_add_f32 v45, v45, v87 :: v_dual_fmamk_f32 v96, v102, 0xbeb58ec6, v104
	s_delay_alu instid0(VALU_DEP_1) | instskip(SKIP_1) | instid1(VALU_DEP_1)
	v_add_f32_e32 v86, v96, v86
	v_fmamk_f32 v96, v66, 0x3f62ad3f, v105
	v_add_f32_e32 v86, v96, v86
	v_fmamk_f32 v96, v69, 0x3f116cb1, v108
	v_mul_f32_e32 v84, 0x3f62ad3f, v41
	s_delay_alu instid0(VALU_DEP_1) | instskip(NEXT) | instid1(VALU_DEP_1)
	v_fmamk_f32 v103, v42, 0xbeedf032, v84
	v_dual_fmac_f32 v84, 0x3eedf032, v42 :: v_dual_add_f32 v81, v103, v81
	v_dual_mul_f32 v103, 0xbf788fa5, v75 :: v_dual_add_f32 v82, v88, v82
	s_delay_alu instid0(VALU_DEP_1) | instskip(NEXT) | instid1(VALU_DEP_2)
	v_fmamk_f32 v88, v73, 0x3e750f2a, v103
	v_dual_fmac_f32 v103, 0xbe750f2a, v73 :: v_dual_add_f32 v82, v83, v82
	s_delay_alu instid0(VALU_DEP_2) | instskip(NEXT) | instid1(VALU_DEP_2)
	v_add_f32_e32 v88, v88, v90
	v_dual_fmamk_f32 v90, v26, 0xbf6f5d39, v101 :: v_dual_add_f32 v87, v103, v89
	v_mul_f32_e32 v103, 0x3eedf032, v99
	v_mul_f32_e32 v106, 0x3f62ad3f, v67
	s_delay_alu instid0(VALU_DEP_3) | instskip(SKIP_1) | instid1(VALU_DEP_3)
	v_dual_fmac_f32 v101, 0x3f6f5d39, v26 :: v_dual_add_f32 v88, v90, v88
	v_fma_f32 v89, 0xbeb58ec6, v102, -v104
	v_dual_add_f32 v83, v84, v85 :: v_dual_fmamk_f32 v90, v74, 0xbeedf032, v106
	v_add_f32_e32 v85, v96, v86
	s_delay_alu instid0(VALU_DEP_3)
	v_dual_fmamk_f32 v86, v68, 0x3f52af12, v109 :: v_dual_add_f32 v45, v89, v45
	v_add_f32_e32 v87, v101, v87
	v_fma_f32 v89, 0x3f62ad3f, v66, -v105
	v_mul_f32_e32 v101, 0xbf3f9e67, v75
	v_dual_mul_f32 v105, 0xbf7e222b, v77 :: v_dual_add_f32 v84, v90, v88
	v_mul_f32_e32 v88, 0xbf29c268, v43
	v_mul_f32_e32 v90, 0xbf3f9e67, v41
	v_add_f32_e32 v45, v89, v45
	v_fmac_f32_e32 v109, 0xbf52af12, v68
	v_add_f32_e32 v86, v86, v84
	v_fmamk_f32 v84, v40, 0xbf3f9e67, v88
	v_fmamk_f32 v96, v42, 0x3f29c268, v90
	v_mul_f32_e32 v104, 0x3f62ad3f, v27
	v_fma_f32 v88, 0xbf3f9e67, v40, -v88
	v_fmac_f32_e32 v90, 0xbf29c268, v42
	v_add_f32_e32 v84, v84, v85
	v_dual_add_f32 v85, v96, v86 :: v_dual_mul_f32 v96, 0x3f29c268, v76
	s_delay_alu instid0(VALU_DEP_1) | instskip(NEXT) | instid1(VALU_DEP_1)
	v_fmamk_f32 v89, v71, 0xbf3f9e67, v96
	v_dual_add_f32 v36, v89, v36 :: v_dual_fmamk_f32 v89, v102, 0x3f62ad3f, v103
	v_fmac_f32_e32 v106, 0x3eedf032, v74
	s_delay_alu instid0(VALU_DEP_2) | instskip(NEXT) | instid1(VALU_DEP_2)
	v_add_f32_e32 v36, v89, v36
	v_add_f32_e32 v86, v106, v87
	v_fma_f32 v87, 0x3f116cb1, v69, -v108
	v_mul_f32_e32 v106, 0x3df6dbef, v67
	v_fmamk_f32 v89, v26, 0xbeedf032, v104
	v_mul_f32_e32 v108, 0x3e750f2a, v72
	s_delay_alu instid0(VALU_DEP_4) | instskip(SKIP_4) | instid1(VALU_DEP_4)
	v_dual_fmac_f32 v104, 0x3eedf032, v26 :: v_dual_add_f32 v45, v87, v45
	v_add_f32_e32 v87, v109, v86
	v_fmamk_f32 v86, v73, 0xbf29c268, v101
	v_fmac_f32_e32 v101, 0x3f29c268, v73
	v_fmamk_f32 v109, v69, 0xbf788fa5, v108
	v_add_f32_e32 v87, v90, v87
	s_delay_alu instid0(VALU_DEP_4) | instskip(NEXT) | instid1(VALU_DEP_4)
	v_add_f32_e32 v86, v86, v94
	v_dual_fmamk_f32 v94, v66, 0x3df6dbef, v105 :: v_dual_add_f32 v93, v101, v93
	s_delay_alu instid0(VALU_DEP_1) | instskip(NEXT) | instid1(VALU_DEP_2)
	v_dual_add_f32 v89, v89, v86 :: v_dual_add_f32 v36, v94, v36
	v_dual_fmamk_f32 v94, v74, 0x3f7e222b, v106 :: v_dual_add_f32 v93, v104, v93
	v_fmac_f32_e32 v106, 0xbf7e222b, v74
	s_delay_alu instid0(VALU_DEP_3) | instskip(NEXT) | instid1(VALU_DEP_2)
	v_dual_add_f32 v36, v109, v36 :: v_dual_mul_f32 v109, 0x3f62ad3f, v70
	v_dual_add_f32 v93, v106, v93 :: v_dual_mul_f32 v106, 0xbf788fa5, v67
	v_add_f32_e32 v86, v88, v45
	v_fma_f32 v45, 0xbf3f9e67, v71, -v96
	s_delay_alu instid0(VALU_DEP_4) | instskip(SKIP_2) | instid1(VALU_DEP_4)
	v_fmamk_f32 v110, v68, 0xbeedf032, v109
	v_mul_f32_e32 v90, 0xbf788fa5, v70
	v_fmac_f32_e32 v109, 0x3eedf032, v68
	v_add_f32_e32 v37, v45, v37
	v_fma_f32 v45, 0x3f62ad3f, v102, -v103
	v_mul_f32_e32 v103, 0x3f116cb1, v41
	v_add_f32_e32 v88, v94, v89
	v_mul_f32_e32 v94, 0x3f52af12, v43
	v_fmamk_f32 v89, v68, 0xbe750f2a, v90
	v_add_f32_e32 v37, v45, v37
	v_fma_f32 v45, 0x3df6dbef, v66, -v105
	s_delay_alu instid0(VALU_DEP_4) | instskip(NEXT) | instid1(VALU_DEP_4)
	v_dual_mul_f32 v105, 0x3f116cb1, v27 :: v_dual_fmamk_f32 v96, v40, 0x3f116cb1, v94
	v_add_f32_e32 v89, v89, v88
	v_mul_f32_e32 v27, 0xbf3f9e67, v27
	s_delay_alu instid0(VALU_DEP_4) | instskip(SKIP_4) | instid1(VALU_DEP_4)
	v_add_f32_e32 v37, v45, v37
	v_fma_f32 v45, 0xbf788fa5, v69, -v108
	v_mul_f32_e32 v108, 0x3eedf032, v72
	v_add_f32_e32 v88, v96, v36
	v_fmamk_f32 v36, v42, 0xbf52af12, v103
	v_dual_mul_f32 v104, 0xbf52af12, v99 :: v_dual_add_f32 v37, v45, v37
	v_add_f32_e32 v6, v18, v6
	s_delay_alu instid0(VALU_DEP_3) | instskip(SKIP_2) | instid1(VALU_DEP_2)
	v_dual_mul_f32 v18, 0x3eedf032, v76 :: v_dual_add_f32 v89, v36, v89
	v_mul_f32_e32 v36, 0x3f7e222b, v76
	v_fmac_f32_e32 v103, 0x3f52af12, v42
	v_fmamk_f32 v45, v71, 0x3df6dbef, v36
	v_fma_f32 v30, 0x3df6dbef, v71, -v36
	v_fmamk_f32 v36, v73, 0xbeedf032, v31
	s_delay_alu instid0(VALU_DEP_3) | instskip(NEXT) | instid1(VALU_DEP_2)
	v_dual_fmac_f32 v31, 0x3eedf032, v73 :: v_dual_add_f32 v44, v45, v44
	v_dual_add_f32 v19, v30, v100 :: v_dual_add_f32 v36, v36, v98
	s_delay_alu instid0(VALU_DEP_2) | instskip(SKIP_3) | instid1(VALU_DEP_4)
	v_dual_add_f32 v31, v31, v58 :: v_dual_fmamk_f32 v58, v26, 0x3f29c268, v27
	v_fmamk_f32 v30, v71, 0x3f62ad3f, v18
	v_fma_f32 v18, 0x3f62ad3f, v71, -v18
	v_fmac_f32_e32 v27, 0xbf29c268, v26
	v_dual_add_f32 v71, v29, v17 :: v_dual_add_f32 v36, v58, v36
	v_mul_f32_e32 v96, 0x3df6dbef, v75
	v_add_f32_e32 v30, v30, v107
	v_dual_add_f32 v18, v18, v57 :: v_dual_mul_f32 v57, 0xbf29c268, v99
	v_add_f32_e32 v27, v27, v31
	s_delay_alu instid0(VALU_DEP_4) | instskip(SKIP_1) | instid1(VALU_DEP_2)
	v_fmamk_f32 v101, v73, 0xbf7e222b, v96
	v_fmac_f32_e32 v96, 0x3f7e222b, v73
	v_add_f32_e32 v45, v101, v97
	v_fmamk_f32 v97, v26, 0x3f52af12, v105
	v_mul_f32_e32 v101, 0x3e750f2a, v77
	v_fmac_f32_e32 v105, 0xbf52af12, v26
	s_delay_alu instid0(VALU_DEP_3) | instskip(SKIP_1) | instid1(VALU_DEP_1)
	v_add_f32_e32 v45, v97, v45
	v_fmamk_f32 v97, v74, 0xbe750f2a, v106
	v_add_f32_e32 v45, v97, v45
	v_fmamk_f32 v97, v69, 0x3f62ad3f, v108
	s_delay_alu instid0(VALU_DEP_2) | instskip(NEXT) | instid1(VALU_DEP_1)
	v_dual_add_f32 v45, v110, v45 :: v_dual_fmac_f32 v90, 0x3e750f2a, v68
	v_add_f32_e32 v93, v90, v93
	s_delay_alu instid0(VALU_DEP_1) | instskip(SKIP_1) | instid1(VALU_DEP_2)
	v_dual_fmamk_f32 v90, v102, 0x3f116cb1, v104 :: v_dual_add_f32 v91, v103, v93
	v_fma_f32 v94, 0x3f116cb1, v40, -v94
	v_add_f32_e32 v44, v90, v44
	v_fmamk_f32 v90, v66, 0xbf788fa5, v101
	s_delay_alu instid0(VALU_DEP_1) | instskip(NEXT) | instid1(VALU_DEP_4)
	v_add_f32_e32 v44, v90, v44
	v_add_f32_e32 v90, v94, v37
	v_mul_f32_e32 v94, 0xbeb58ec6, v41
	v_mul_f32_e32 v37, 0xbf6f5d39, v43
	s_delay_alu instid0(VALU_DEP_2) | instskip(NEXT) | instid1(VALU_DEP_1)
	v_fmamk_f32 v110, v42, 0x3f6f5d39, v94
	v_add_f32_e32 v93, v110, v45
	v_fma_f32 v45, 0x3f116cb1, v102, -v104
	s_delay_alu instid0(VALU_DEP_1) | instskip(SKIP_2) | instid1(VALU_DEP_2)
	v_add_f32_e32 v19, v45, v19
	v_fmamk_f32 v45, v102, 0xbf3f9e67, v57
	v_fma_f32 v57, 0xbf3f9e67, v102, -v57
	v_dual_add_f32 v30, v45, v30 :: v_dual_mul_f32 v45, 0x3f52af12, v77
	v_dual_add_f32 v44, v97, v44 :: v_dual_fmamk_f32 v97, v40, 0xbeb58ec6, v37
	s_delay_alu instid0(VALU_DEP_3) | instskip(NEXT) | instid1(VALU_DEP_3)
	v_dual_add_f32 v18, v57, v18 :: v_dual_mul_f32 v57, 0x3f116cb1, v67
	v_fmamk_f32 v31, v66, 0x3f116cb1, v45
	v_fma_f32 v45, 0x3f116cb1, v66, -v45
	s_delay_alu instid0(VALU_DEP_4) | instskip(SKIP_1) | instid1(VALU_DEP_4)
	v_add_f32_e32 v92, v97, v44
	v_fma_f32 v37, 0xbeb58ec6, v40, -v37
	v_add_f32_e32 v30, v31, v30
	s_delay_alu instid0(VALU_DEP_4) | instskip(SKIP_2) | instid1(VALU_DEP_2)
	v_add_f32_e32 v18, v45, v18
	v_dual_mul_f32 v45, 0xbeb58ec6, v70 :: v_dual_add_f32 v44, v96, v95
	v_fmac_f32_e32 v94, 0xbf6f5d39, v42
	v_add_f32_e32 v26, v105, v44
	v_fma_f32 v44, 0xbf788fa5, v66, -v101
	s_delay_alu instid0(VALU_DEP_1) | instskip(SKIP_2) | instid1(VALU_DEP_2)
	v_dual_sub_f32 v66, v25, v5 :: v_dual_add_f32 v19, v44, v19
	v_fmamk_f32 v44, v74, 0xbf52af12, v57
	v_fmac_f32_e32 v57, 0x3f52af12, v74
	v_add_f32_e32 v31, v44, v36
	v_mul_f32_e32 v36, 0xbf6f5d39, v72
	v_fma_f32 v44, 0x3f62ad3f, v69, -v108
	s_delay_alu instid0(VALU_DEP_4) | instskip(SKIP_1) | instid1(VALU_DEP_3)
	v_add_f32_e32 v27, v57, v27
	v_mul_f32_e32 v57, 0x3f7e222b, v43
	v_dual_fmamk_f32 v58, v69, 0xbeb58ec6, v36 :: v_dual_add_f32 v19, v44, v19
	v_fmamk_f32 v44, v68, 0x3f6f5d39, v45
	v_fma_f32 v36, 0xbeb58ec6, v69, -v36
	s_delay_alu instid0(VALU_DEP_3) | instskip(NEXT) | instid1(VALU_DEP_4)
	v_dual_fmac_f32 v45, 0xbf6f5d39, v68 :: v_dual_add_f32 v30, v58, v30
	v_dual_fmamk_f32 v58, v40, 0x3df6dbef, v57 :: v_dual_add_f32 v43, v37, v19
	v_dual_add_f32 v19, v47, v28 :: v_dual_mul_f32 v28, 0xbeedf032, v23
	v_add_f32_e32 v47, v5, v25
	v_add_f32_e32 v5, v71, v5
	s_delay_alu instid0(VALU_DEP_4)
	v_add_f32_e32 v67, v58, v30
	v_fmac_f32_e32 v106, 0x3e750f2a, v74
	v_fma_f32 v30, 0x3df6dbef, v40, -v57
	v_fma_f32 v57, 0x3f62ad3f, v39, -v28
	v_sub_f32_e32 v58, v21, v17
	v_add_f32_e32 v70, v19, v16
	v_dual_add_f32 v19, v16, v20 :: v_dual_add_f32 v26, v106, v26
	s_delay_alu instid0(VALU_DEP_4) | instskip(NEXT) | instid1(VALU_DEP_4)
	v_add_f32_e32 v25, v1, v57
	v_mul_f32_e32 v17, 0xbf7e222b, v58
	v_add_f32_e32 v31, v44, v31
	v_sub_f32_e32 v40, v20, v16
	v_add_f32_e32 v26, v109, v26
	v_add_f32_e32 v5, v5, v56
	v_add_f32_e32 v37, v4, v24
	v_add_f32_e32 v27, v45, v27
	s_delay_alu instid0(VALU_DEP_4)
	v_dual_mul_f32 v21, 0xbf7e222b, v40 :: v_dual_add_f32 v44, v94, v26
	v_mul_f32_e32 v26, 0x3df6dbef, v41
	v_add_f32_e32 v36, v36, v18
	v_sub_f32_e32 v41, v24, v4
	v_add_f32_e32 v4, v70, v4
	v_mul_f32_e32 v16, 0xbf52af12, v66
	v_fmamk_f32 v57, v42, 0xbf7e222b, v26
	s_delay_alu instid0(VALU_DEP_4) | instskip(SKIP_1) | instid1(VALU_DEP_4)
	v_dual_add_f32 v69, v30, v36 :: v_dual_mul_f32 v20, 0xbf52af12, v41
	v_fmac_f32_e32 v26, 0x3f7e222b, v42
	v_fmamk_f32 v29, v37, 0x3f116cb1, v16
	s_delay_alu instid0(VALU_DEP_4) | instskip(SKIP_2) | instid1(VALU_DEP_2)
	v_add_f32_e32 v68, v57, v31
	v_dual_mul_f32 v31, 0xbf29c268, v15 :: v_dual_sub_f32 v30, v8, v12
	v_dual_sub_f32 v57, v9, v13 :: v_dual_add_f32 v4, v4, v55
	v_fma_f32 v70, 0xbf3f9e67, v34, -v31
	v_mul_f32_e32 v18, 0xbeedf032, v38
	s_delay_alu instid0(VALU_DEP_1) | instskip(NEXT) | instid1(VALU_DEP_1)
	v_fmamk_f32 v45, v11, 0x3f62ad3f, v18
	v_add_f32_e32 v24, v0, v45
	v_fma_f32 v45, 0x3f116cb1, v47, -v20
	s_delay_alu instid0(VALU_DEP_2) | instskip(NEXT) | instid1(VALU_DEP_2)
	v_dual_add_f32 v24, v29, v24 :: v_dual_fmamk_f32 v29, v19, 0x3df6dbef, v17
	v_add_f32_e32 v25, v45, v25
	v_fma_f32 v45, 0x3df6dbef, v46, -v21
	s_delay_alu instid0(VALU_DEP_3) | instskip(SKIP_1) | instid1(VALU_DEP_3)
	v_add_f32_e32 v36, v29, v24
	v_dual_mul_f32 v24, 0xbf6f5d39, v33 :: v_dual_mul_f32 v29, 0xbf6f5d39, v22
	v_dual_add_f32 v42, v45, v25 :: v_dual_add_f32 v25, v12, v8
	s_delay_alu instid0(VALU_DEP_2) | instskip(NEXT) | instid1(VALU_DEP_3)
	v_dual_add_f32 v45, v13, v9 :: v_dual_fmamk_f32 v8, v10, 0xbeb58ec6, v24
	v_fma_f32 v9, 0xbeb58ec6, v32, -v29
	v_mul_f32_e32 v13, 0xbf29c268, v35
	v_mul_f32_e32 v12, 0xbe750f2a, v57
	s_delay_alu instid0(VALU_DEP_3) | instskip(NEXT) | instid1(VALU_DEP_3)
	v_dual_add_f32 v8, v8, v36 :: v_dual_add_f32 v9, v9, v42
	v_fmamk_f32 v42, v14, 0xbf3f9e67, v13
	s_delay_alu instid0(VALU_DEP_2) | instskip(NEXT) | instid1(VALU_DEP_2)
	v_dual_mul_f32 v36, 0xbe750f2a, v30 :: v_dual_add_f32 v9, v70, v9
	v_add_f32_e32 v8, v42, v8
	v_fmamk_f32 v42, v25, 0xbf788fa5, v12
	s_delay_alu instid0(VALU_DEP_3) | instskip(SKIP_1) | instid1(VALU_DEP_2)
	v_fma_f32 v71, 0xbf788fa5, v45, -v36
	v_add_f32_e32 v70, v26, v27
	v_dual_add_f32 v26, v42, v8 :: v_dual_add_f32 v27, v71, v9
	v_mad_u32_u24 v8, 0x68, v50, v59
	ds_store_2addr_b64 v8, v[6:7], v[78:79] offset1:1
	ds_store_2addr_b64 v8, v[80:81], v[84:85] offset0:2 offset1:3
	ds_store_2addr_b64 v8, v[88:89], v[92:93] offset0:4 offset1:5
	;; [unrolled: 1-line block ×5, first 2 shown]
	ds_store_b64 v8, v[2:3] offset:96
	v_cmpx_gt_u32_e32 3, v50
	s_cbranch_execz .LBB0_14
; %bb.13:
	v_mul_f32_e32 v68, 0xbe750f2a, v38
	v_mul_f32_e32 v70, 0x3eedf032, v66
	;; [unrolled: 1-line block ×5, first 2 shown]
	v_fmamk_f32 v7, v11, 0xbf788fa5, v68
	v_fmamk_f32 v9, v37, 0x3f62ad3f, v70
	v_mul_f32_e32 v74, 0x3f52af12, v33
	v_mul_f32_e32 v76, 0xbf6f5d39, v35
	;; [unrolled: 1-line block ×3, first 2 shown]
	v_dual_add_f32 v7, v0, v7 :: v_dual_fmamk_f32 v6, v23, 0x3e750f2a, v67
	v_mul_f32_e32 v78, 0x3f7e222b, v57
	v_mul_f32_e32 v94, 0xbf3f9e67, v47
	s_delay_alu instid0(VALU_DEP_4) | instskip(NEXT) | instid1(VALU_DEP_4)
	v_fmamk_f32 v8, v41, 0xbeedf032, v69
	v_add_f32_e32 v7, v9, v7
	v_dual_fmamk_f32 v9, v19, 0xbf3f9e67, v72 :: v_dual_add_f32 v6, v1, v6
	v_fmamk_f32 v55, v25, 0x3df6dbef, v78
	v_mul_f32_e32 v43, 0x3f62ad3f, v39
	v_dual_mul_f32 v44, 0x3f116cb1, v37 :: v_dual_mul_f32 v73, 0x3f116cb1, v32
	s_delay_alu instid0(VALU_DEP_4) | instskip(SKIP_2) | instid1(VALU_DEP_2)
	v_add_f32_e32 v7, v9, v7
	v_dual_fmamk_f32 v9, v10, 0x3f116cb1, v74 :: v_dual_add_f32 v6, v8, v6
	v_dual_mul_f32 v80, 0xbf29c268, v38 :: v_dual_fmamk_f32 v95, v41, 0xbf29c268, v94
	v_dual_mul_f32 v82, 0x3f7e222b, v66 :: v_dual_add_f32 v7, v9, v7
	v_fmamk_f32 v9, v14, 0xbeb58ec6, v76
	v_mul_f32_e32 v75, 0xbeb58ec6, v34
	s_delay_alu instid0(VALU_DEP_3) | instskip(SKIP_1) | instid1(VALU_DEP_4)
	v_dual_mul_f32 v77, 0x3df6dbef, v45 :: v_dual_fmamk_f32 v56, v37, 0x3df6dbef, v82
	v_mul_f32_e32 v79, 0xbf3f9e67, v39
	v_add_f32_e32 v9, v9, v7
	v_mul_f32_e32 v71, 0xbf3f9e67, v46
	v_dual_mul_f32 v90, 0xbf6f5d39, v57 :: v_dual_mul_f32 v93, 0xbf6f5d39, v38
	v_mul_f32_e32 v81, 0x3df6dbef, v47
	v_mul_f32_e32 v89, 0xbeb58ec6, v45
	s_delay_alu instid0(VALU_DEP_4) | instskip(NEXT) | instid1(VALU_DEP_4)
	v_fmamk_f32 v8, v40, 0x3f29c268, v71
	v_fmamk_f32 v92, v25, 0xbeb58ec6, v90
	v_mul_f32_e32 v84, 0xbf52af12, v58
	v_mul_f32_e32 v83, 0x3f116cb1, v46
	v_dual_mul_f32 v101, 0xbf788fa5, v34 :: v_dual_mul_f32 v108, 0xbf788fa5, v47
	v_add_f32_e32 v6, v8, v6
	v_fmamk_f32 v8, v22, 0xbf52af12, v73
	v_mul_f32_e32 v86, 0x3e750f2a, v33
	v_mul_f32_e32 v85, 0xbf788fa5, v32
	v_dual_mul_f32 v102, 0x3e750f2a, v35 :: v_dual_fmamk_f32 v109, v41, 0x3e750f2a, v108
	s_delay_alu instid0(VALU_DEP_4)
	v_add_f32_e32 v6, v8, v6
	v_fmamk_f32 v8, v15, 0x3f6f5d39, v75
	v_mul_f32_e32 v104, 0x3f52af12, v57
	v_mul_f32_e32 v103, 0x3f116cb1, v45
	;; [unrolled: 1-line block ×4, first 2 shown]
	v_add_f32_e32 v6, v8, v6
	v_fmamk_f32 v8, v30, 0xbf7e222b, v77
	v_fmamk_f32 v106, v25, 0x3f116cb1, v104
	v_mul_f32_e32 v88, 0x3eedf032, v35
	v_mul_f32_e32 v87, 0x3f62ad3f, v34
	;; [unrolled: 1-line block ×3, first 2 shown]
	v_dual_add_f32 v7, v8, v6 :: v_dual_fmamk_f32 v8, v23, 0x3f29c268, v79
	v_add_f32_e32 v6, v55, v9
	v_fmamk_f32 v9, v11, 0xbf3f9e67, v80
	v_fmamk_f32 v55, v41, 0xbf7e222b, v81
	v_mul_f32_e32 v99, 0x3df6dbef, v32
	v_add_f32_e32 v8, v1, v8
	v_dual_mul_f32 v100, 0xbf7e222b, v33 :: v_dual_mul_f32 v107, 0xbf7e222b, v38
	v_add_f32_e32 v9, v0, v9
	s_delay_alu instid0(VALU_DEP_3) | instskip(SKIP_1) | instid1(VALU_DEP_3)
	v_dual_mul_f32 v123, 0xbe750f2a, v58 :: v_dual_add_f32 v8, v55, v8
	v_dual_mul_f32 v105, 0x3df6dbef, v39 :: v_dual_mul_f32 v128, 0x3df6dbef, v46
	v_dual_add_f32 v9, v56, v9 :: v_dual_fmamk_f32 v56, v19, 0x3f116cb1, v84
	v_fmamk_f32 v55, v40, 0x3f52af12, v83
	v_mul_f32_e32 v112, 0x3f6f5d39, v58
	v_dual_mul_f32 v113, 0x3f62ad3f, v32 :: v_dual_mul_f32 v126, 0x3f62ad3f, v45
	s_delay_alu instid0(VALU_DEP_3) | instskip(SKIP_4) | instid1(VALU_DEP_3)
	v_dual_add_f32 v9, v56, v9 :: v_dual_add_f32 v8, v55, v8
	v_fmamk_f32 v56, v10, 0xbf788fa5, v86
	v_fmamk_f32 v55, v22, 0xbe750f2a, v85
	v_mul_f32_e32 v115, 0x3f116cb1, v34
	v_dual_fmac_f32 v67, 0xbe750f2a, v23 :: v_dual_fmac_f32 v108, 0xbe750f2a, v41
	v_dual_add_f32 v9, v56, v9 :: v_dual_add_f32 v8, v55, v8
	v_fmamk_f32 v56, v14, 0x3f62ad3f, v88
	v_fmamk_f32 v55, v15, 0xbeedf032, v87
	v_fmac_f32_e32 v87, 0x3eedf032, v15
	v_mul_f32_e32 v121, 0xbf788fa5, v46
	s_delay_alu instid0(VALU_DEP_4) | instskip(NEXT) | instid1(VALU_DEP_4)
	v_dual_mul_f32 v125, 0x3f7e222b, v35 :: v_dual_add_f32 v56, v56, v9
	v_dual_add_f32 v8, v55, v8 :: v_dual_fmamk_f32 v55, v30, 0x3f6f5d39, v89
	v_dual_mul_f32 v127, 0x3f116cb1, v47 :: v_dual_sub_f32 v18, v42, v18
	v_fmac_f32_e32 v79, 0xbf29c268, v23
	v_fmac_f32_e32 v81, 0x3f7e222b, v41
	s_delay_alu instid0(VALU_DEP_4)
	v_add_f32_e32 v9, v55, v8
	v_add_f32_e32 v8, v92, v56
	v_fmamk_f32 v56, v11, 0xbeb58ec6, v93
	v_fmamk_f32 v55, v23, 0x3f6f5d39, v91
	v_fmac_f32_e32 v91, 0xbf6f5d39, v23
	v_dual_mul_f32 v116, 0xbf52af12, v35 :: v_dual_fmac_f32 v83, 0xbf52af12, v40
	s_delay_alu instid0(VALU_DEP_3)
	v_dual_add_f32 v56, v0, v56 :: v_dual_add_f32 v55, v1, v55
	v_fmac_f32_e32 v85, 0x3e750f2a, v22
	v_fmac_f32_e32 v89, 0xbf6f5d39, v30
	;; [unrolled: 1-line block ×4, first 2 shown]
	v_add_f32_e32 v55, v95, v55
	v_fmamk_f32 v95, v40, 0xbeedf032, v96
	v_fmac_f32_e32 v77, 0x3f7e222b, v30
	v_mul_f32_e32 v120, 0xbf52af12, v38
	v_mul_f32_e32 v118, 0xbf29c268, v57
	s_delay_alu instid0(VALU_DEP_4) | instskip(SKIP_4) | instid1(VALU_DEP_4)
	v_dual_mul_f32 v124, 0x3f29c268, v33 :: v_dual_add_f32 v55, v95, v55
	v_fmamk_f32 v95, v22, 0x3f7e222b, v99
	v_mul_f32_e32 v117, 0xbf3f9e67, v45
	v_mul_f32_e32 v45, 0xbf788fa5, v45
	v_fmac_f32_e32 v71, 0xbf29c268, v40
	v_dual_mul_f32 v130, 0xbf3f9e67, v14 :: v_dual_add_f32 v55, v95, v55
	v_fmamk_f32 v95, v15, 0xbe750f2a, v101
	v_mul_f32_e32 v92, 0x3f29c268, v66
	v_fmac_f32_e32 v101, 0x3e750f2a, v15
	s_delay_alu instid0(VALU_DEP_4) | instskip(NEXT) | instid1(VALU_DEP_4)
	v_dual_sub_f32 v13, v130, v13 :: v_dual_add_f32 v28, v28, v43
	v_add_f32_e32 v55, v95, v55
	s_delay_alu instid0(VALU_DEP_4) | instskip(SKIP_3) | instid1(VALU_DEP_4)
	v_fmamk_f32 v97, v37, 0xbf3f9e67, v92
	v_fmamk_f32 v95, v30, 0xbf52af12, v103
	v_fmac_f32_e32 v94, 0x3f29c268, v41
	v_mul_f32_e32 v119, 0x3f116cb1, v39
	v_dual_fmac_f32 v103, 0x3f52af12, v30 :: v_dual_add_f32 v56, v97, v56
	v_fmamk_f32 v97, v19, 0x3f62ad3f, v98
	v_fmac_f32_e32 v96, 0x3eedf032, v40
	v_sub_f32_e32 v16, v44, v16
	s_delay_alu instid0(VALU_DEP_3) | instskip(NEXT) | instid1(VALU_DEP_1)
	v_dual_add_f32 v56, v97, v56 :: v_dual_fmamk_f32 v97, v10, 0x3df6dbef, v100
	v_dual_add_f32 v56, v97, v56 :: v_dual_fmamk_f32 v97, v14, 0xbf788fa5, v102
	s_delay_alu instid0(VALU_DEP_1) | instskip(SKIP_3) | instid1(VALU_DEP_4)
	v_dual_add_f32 v97, v97, v56 :: v_dual_add_f32 v56, v95, v55
	v_fmamk_f32 v95, v23, 0x3f7e222b, v105
	v_fmac_f32_e32 v99, 0xbf7e222b, v22
	v_fmac_f32_e32 v105, 0xbf7e222b, v23
	v_add_f32_e32 v55, v106, v97
	v_fmamk_f32 v97, v11, 0x3df6dbef, v107
	v_dual_mul_f32 v106, 0xbe750f2a, v66 :: v_dual_add_f32 v95, v1, v95
	v_mul_f32_e32 v110, 0xbeb58ec6, v46
	s_delay_alu instid0(VALU_DEP_3) | instskip(NEXT) | instid1(VALU_DEP_3)
	v_dual_mul_f32 v66, 0xbf6f5d39, v66 :: v_dual_add_f32 v97, v0, v97
	v_fmamk_f32 v111, v37, 0xbf788fa5, v106
	s_delay_alu instid0(VALU_DEP_4) | instskip(NEXT) | instid1(VALU_DEP_4)
	v_add_f32_e32 v95, v109, v95
	v_fmamk_f32 v109, v40, 0xbf6f5d39, v110
	v_mul_f32_e32 v114, 0x3eedf032, v33
	s_delay_alu instid0(VALU_DEP_4) | instskip(SKIP_1) | instid1(VALU_DEP_4)
	v_dual_fmamk_f32 v122, v37, 0xbeb58ec6, v66 :: v_dual_add_f32 v97, v111, v97
	v_fmamk_f32 v111, v19, 0xbeb58ec6, v112
	v_add_f32_e32 v95, v109, v95
	v_fmamk_f32 v109, v22, 0xbeedf032, v113
	v_fmac_f32_e32 v110, 0x3f6f5d39, v40
	v_fmac_f32_e32 v113, 0x3eedf032, v22
	v_add_f32_e32 v97, v111, v97
	v_fmamk_f32 v111, v10, 0x3f62ad3f, v114
	v_add_f32_e32 v95, v109, v95
	v_fmamk_f32 v109, v15, 0x3f52af12, v115
	s_delay_alu instid0(VALU_DEP_3) | instskip(SKIP_1) | instid1(VALU_DEP_3)
	v_add_f32_e32 v97, v111, v97
	v_fmamk_f32 v111, v14, 0x3f116cb1, v116
	v_add_f32_e32 v95, v109, v95
	s_delay_alu instid0(VALU_DEP_2) | instskip(SKIP_1) | instid1(VALU_DEP_1)
	v_add_f32_e32 v97, v111, v97
	v_fmamk_f32 v111, v25, 0xbf3f9e67, v118
	v_add_f32_e32 v38, v111, v97
	v_fmamk_f32 v97, v11, 0x3f116cb1, v120
	s_delay_alu instid0(VALU_DEP_1) | instskip(NEXT) | instid1(VALU_DEP_1)
	v_add_f32_e32 v97, v0, v97
	v_dual_add_f32 v97, v122, v97 :: v_dual_fmamk_f32 v122, v19, 0xbf788fa5, v123
	s_delay_alu instid0(VALU_DEP_1) | instskip(SKIP_3) | instid1(VALU_DEP_2)
	v_add_f32_e32 v97, v122, v97
	v_fmamk_f32 v122, v10, 0xbf3f9e67, v124
	v_fmamk_f32 v109, v30, 0x3f29c268, v117
	v_fmac_f32_e32 v117, 0xbf29c268, v30
	v_add_f32_e32 v39, v109, v95
	v_fmamk_f32 v95, v23, 0x3f52af12, v119
	v_mul_f32_e32 v109, 0xbeb58ec6, v47
	s_delay_alu instid0(VALU_DEP_2) | instskip(NEXT) | instid1(VALU_DEP_2)
	v_add_f32_e32 v95, v1, v95
	v_fmamk_f32 v111, v41, 0x3f6f5d39, v109
	s_delay_alu instid0(VALU_DEP_1) | instskip(SKIP_1) | instid1(VALU_DEP_1)
	v_dual_add_f32 v58, v111, v95 :: v_dual_fmamk_f32 v95, v40, 0x3e750f2a, v121
	v_mul_f32_e32 v111, 0xbf3f9e67, v32
	v_dual_add_f32 v33, v95, v58 :: v_dual_fmamk_f32 v58, v22, 0xbf29c268, v111
	v_mul_f32_e32 v95, 0x3df6dbef, v34
	s_delay_alu instid0(VALU_DEP_2) | instskip(NEXT) | instid1(VALU_DEP_2)
	v_add_f32_e32 v33, v58, v33
	v_dual_fmamk_f32 v35, v15, 0xbf7e222b, v95 :: v_dual_add_f32 v58, v122, v97
	v_fmamk_f32 v97, v14, 0x3df6dbef, v125
	v_mul_f32_e32 v122, 0x3eedf032, v57
	s_delay_alu instid0(VALU_DEP_3) | instskip(SKIP_1) | instid1(VALU_DEP_4)
	v_add_f32_e32 v33, v35, v33
	v_fmamk_f32 v35, v30, 0xbeedf032, v126
	v_add_f32_e32 v57, v97, v58
	s_delay_alu instid0(VALU_DEP_4) | instskip(NEXT) | instid1(VALU_DEP_3)
	v_fmamk_f32 v58, v25, 0x3f62ad3f, v122
	v_dual_fmac_f32 v126, 0x3eedf032, v30 :: v_dual_add_f32 v47, v35, v33
	v_add_f32_e32 v33, v1, v67
	v_mul_f32_e32 v67, 0xbeb58ec6, v32
	v_fma_f32 v32, 0xbf788fa5, v11, -v68
	v_mul_f32_e32 v68, 0xbf3f9e67, v34
	v_fma_f32 v34, 0x3f62ad3f, v37, -v70
	v_dual_add_f32 v35, v1, v79 :: v_dual_add_f32 v46, v58, v57
	s_delay_alu instid0(VALU_DEP_4) | instskip(SKIP_2) | instid1(VALU_DEP_4)
	v_add_f32_e32 v32, v0, v32
	v_fma_f32 v57, 0xbf3f9e67, v11, -v80
	v_fma_f32 v58, 0x3df6dbef, v37, -v82
	v_add_f32_e32 v35, v81, v35
	s_delay_alu instid0(VALU_DEP_4) | instskip(SKIP_2) | instid1(VALU_DEP_4)
	v_dual_fmac_f32 v69, 0x3eedf032, v41 :: v_dual_add_f32 v32, v34, v32
	v_fma_f32 v34, 0xbf3f9e67, v19, -v72
	v_add_f32_e32 v57, v0, v57
	v_add_f32_e32 v35, v83, v35
	;; [unrolled: 1-line block ×3, first 2 shown]
	s_delay_alu instid0(VALU_DEP_4) | instskip(SKIP_1) | instid1(VALU_DEP_4)
	v_dual_add_f32 v33, v69, v33 :: v_dual_add_f32 v32, v34, v32
	v_fma_f32 v34, 0x3f116cb1, v10, -v74
	v_add_f32_e32 v35, v85, v35
	v_add_f32_e32 v57, v58, v57
	v_fma_f32 v58, 0x3f116cb1, v19, -v84
	v_add_f32_e32 v70, v94, v70
	v_add_f32_e32 v32, v34, v32
	;; [unrolled: 3-line block ×3, first 2 shown]
	v_fma_f32 v58, 0xbf788fa5, v10, -v86
	v_fma_f32 v71, 0xbf3f9e67, v37, -v92
	v_add_f32_e32 v32, v34, v32
	v_fma_f32 v34, 0x3df6dbef, v25, -v78
	s_delay_alu instid0(VALU_DEP_4) | instskip(SKIP_2) | instid1(VALU_DEP_4)
	v_dual_add_f32 v70, v96, v70 :: v_dual_add_f32 v57, v58, v57
	v_fma_f32 v58, 0x3f62ad3f, v14, -v88
	v_fma_f32 v72, 0x3df6dbef, v10, -v100
	v_add_f32_e32 v32, v34, v32
	v_add_f32_e32 v34, v87, v35
	s_delay_alu instid0(VALU_DEP_4) | instskip(SKIP_2) | instid1(VALU_DEP_4)
	v_dual_add_f32 v70, v99, v70 :: v_dual_add_f32 v57, v58, v57
	v_fma_f32 v58, 0xbeb58ec6, v25, -v90
	v_add_f32_e32 v33, v73, v33
	v_add_f32_e32 v35, v89, v34
	v_fma_f32 v34, 0xbeb58ec6, v11, -v93
	v_fma_f32 v74, 0xbf788fa5, v37, -v106
	v_fmac_f32_e32 v115, 0xbf52af12, v15
	v_fmac_f32_e32 v119, 0xbf52af12, v23
	s_delay_alu instid0(VALU_DEP_4) | instskip(NEXT) | instid1(VALU_DEP_1)
	v_dual_add_f32 v33, v75, v33 :: v_dual_add_f32 v34, v0, v34
	v_dual_add_f32 v33, v77, v33 :: v_dual_add_f32 v34, v71, v34
	v_fma_f32 v71, 0x3f62ad3f, v19, -v98
	v_fmac_f32_e32 v109, 0xbf6f5d39, v41
	s_delay_alu instid0(VALU_DEP_2) | instskip(NEXT) | instid1(VALU_DEP_1)
	v_dual_add_f32 v71, v71, v34 :: v_dual_add_f32 v34, v58, v57
	v_dual_add_f32 v57, v101, v70 :: v_dual_add_f32 v70, v72, v71
	v_fma_f32 v71, 0xbf788fa5, v14, -v102
	s_delay_alu instid0(VALU_DEP_2)
	v_add_f32_e32 v58, v103, v57
	v_fma_f32 v57, 0x3df6dbef, v11, -v107
	v_fma_f32 v11, 0x3f116cb1, v11, -v120
	v_add_f32_e32 v72, v1, v105
	v_add_f32_e32 v70, v71, v70
	v_fma_f32 v71, 0x3f116cb1, v25, -v104
	v_add_f32_e32 v73, v0, v57
	v_add_f32_e32 v11, v0, v11
	;; [unrolled: 1-line block ×4, first 2 shown]
	s_delay_alu instid0(VALU_DEP_4)
	v_dual_add_f32 v57, v71, v70 :: v_dual_add_f32 v70, v74, v73
	v_fmac_f32_e32 v95, 0x3f7e222b, v15
	v_fma_f32 v15, 0xbeb58ec6, v37, -v66
	v_fma_f32 v71, 0xbeb58ec6, v19, -v112
	v_dual_mul_f32 v97, 0x3df6dbef, v19 :: v_dual_add_f32 v0, v16, v0
	v_mul_f32_e32 v129, 0xbeb58ec6, v10
	s_delay_alu instid0(VALU_DEP_4) | instskip(SKIP_1) | instid1(VALU_DEP_4)
	v_add_f32_e32 v11, v15, v11
	v_fma_f32 v15, 0xbf788fa5, v19, -v123
	v_dual_sub_f32 v16, v97, v17 :: v_dual_add_f32 v23, v110, v72
	v_dual_add_f32 v72, v1, v119 :: v_dual_add_f32 v41, v71, v70
	v_fma_f32 v70, 0x3f62ad3f, v10, -v114
	v_add_f32_e32 v1, v1, v28
	v_add_f32_e32 v19, v20, v127
	v_add_f32_e32 v11, v15, v11
	v_fma_f32 v10, 0xbf3f9e67, v10, -v124
	v_add_f32_e32 v71, v109, v72
	v_dual_fmac_f32 v121, 0xbe750f2a, v40 :: v_dual_add_f32 v40, v70, v41
	v_add_f32_e32 v1, v19, v1
	s_delay_alu instid0(VALU_DEP_4) | instskip(SKIP_3) | instid1(VALU_DEP_4)
	v_dual_add_f32 v15, v21, v128 :: v_dual_add_f32 v10, v10, v11
	v_fma_f32 v11, 0x3df6dbef, v14, -v125
	v_fma_f32 v41, 0x3f116cb1, v14, -v116
	v_dual_add_f32 v70, v121, v71 :: v_dual_fmac_f32 v111, 0x3f29c268, v22
	v_dual_add_f32 v1, v15, v1 :: v_dual_add_f32 v0, v16, v0
	s_delay_alu instid0(VALU_DEP_4) | instskip(SKIP_1) | instid1(VALU_DEP_2)
	v_dual_sub_f32 v15, v129, v24 :: v_dual_add_f32 v10, v11, v10
	v_dual_add_f32 v14, v29, v67 :: v_dual_mul_f32 v69, 0xbf788fa5, v25
	v_dual_add_f32 v23, v113, v23 :: v_dual_add_f32 v0, v15, v0
	v_dual_add_f32 v22, v41, v40 :: v_dual_add_f32 v41, v111, v70
	s_delay_alu instid0(VALU_DEP_3)
	v_add_f32_e32 v1, v14, v1
	v_add_f32_e32 v11, v31, v68
	v_mul_i32_i24_e32 v15, 0x68, v54
	v_add_f32_e32 v23, v115, v23
	v_fma_f32 v40, 0xbf3f9e67, v25, -v118
	v_add_f32_e32 v37, v95, v41
	v_fma_f32 v14, 0x3f62ad3f, v25, -v122
	v_add_f32_e32 v11, v11, v1
	v_add_f32_e32 v13, v13, v0
	v_sub_f32_e32 v12, v69, v12
	v_add_f32_e32 v16, v36, v45
	v_add3_u32 v15, 0, v15, v51
	v_dual_add_f32 v23, v117, v23 :: v_dual_add_f32 v22, v40, v22
	v_add_f32_e32 v1, v126, v37
	s_delay_alu instid0(VALU_DEP_4)
	v_dual_add_f32 v0, v14, v10 :: v_dual_add_f32 v11, v16, v11
	v_add_f32_e32 v10, v12, v13
	ds_store_2addr_b64 v15, v[4:5], v[26:27] offset1:1
	ds_store_2addr_b64 v15, v[46:47], v[38:39] offset0:2 offset1:3
	ds_store_2addr_b64 v15, v[55:56], v[8:9] offset0:4 offset1:5
	;; [unrolled: 1-line block ×5, first 2 shown]
	ds_store_b64 v15, v[10:11] offset:96
.LBB0_14:
	s_wait_alu 0xfffe
	s_or_b32 exec_lo, exec_lo, s1
	v_lshlrev_b32_e32 v0, 3, v54
	global_wb scope:SCOPE_SE
	s_wait_dscnt 0x0
	s_barrier_signal -1
	s_barrier_wait -1
	global_inv scope:SCOPE_SE
	v_add3_u32 v30, 0, v0, v51
	ds_load_2addr_b64 v[22:25], v62 offset0:182 offset1:221
	ds_load_2addr_b64 v[18:21], v65 offset0:108 offset1:147
	;; [unrolled: 1-line block ×3, first 2 shown]
	ds_load_b64 v[28:29], v60
	ds_load_b64 v[0:1], v30
	ds_load_2addr_b64 v[10:13], v65 offset0:4 offset1:43
	ds_load_2addr_b64 v[14:17], v65 offset0:186 offset1:225
	v_cmp_gt_u32_e64 s0, 26, v50
	s_delay_alu instid0(VALU_DEP_1)
	s_and_saveexec_b32 s1, s0
	s_cbranch_execz .LBB0_16
; %bb.15:
	v_add_nc_u32_e32 v2, 0x400, v62
	ds_load_2addr_b64 v[2:5], v2 offset0:28 offset1:210
	ds_load_b64 v[26:27], v62 offset:4160
.LBB0_16:
	s_wait_alu 0xfffe
	s_or_b32 exec_lo, exec_lo, s1
	v_and_b32_e32 v31, 0xff, v50
	v_and_b32_e32 v32, 0xff, v54
	v_add_nc_u16 v35, v50, 0x4e
	v_add_nc_u16 v39, v50, 0x75
	s_delay_alu instid0(VALU_DEP_4) | instskip(NEXT) | instid1(VALU_DEP_4)
	v_mul_lo_u16 v31, 0x4f, v31
	v_mul_lo_u16 v32, 0x4f, v32
	s_delay_alu instid0(VALU_DEP_3) | instskip(NEXT) | instid1(VALU_DEP_3)
	v_and_b32_e32 v33, 0xff, v39
	v_lshrrev_b16 v47, 10, v31
	s_delay_alu instid0(VALU_DEP_3) | instskip(SKIP_1) | instid1(VALU_DEP_4)
	v_lshrrev_b16 v55, 10, v32
	v_and_b32_e32 v32, 0xff, v35
	v_mul_lo_u16 v33, 0x4f, v33
	s_delay_alu instid0(VALU_DEP_4) | instskip(NEXT) | instid1(VALU_DEP_4)
	v_mul_lo_u16 v31, v47, 13
	v_mul_lo_u16 v34, v55, 13
	s_delay_alu instid0(VALU_DEP_4) | instskip(NEXT) | instid1(VALU_DEP_4)
	v_mul_lo_u16 v32, 0x4f, v32
	v_lshrrev_b16 v58, 10, v33
	v_and_b32_e32 v47, 0xffff, v47
	v_sub_nc_u16 v31, v50, v31
	v_sub_nc_u16 v34, v54, v34
	v_lshrrev_b16 v57, 10, v32
	v_mul_lo_u16 v40, v58, 13
	v_and_b32_e32 v55, 0xffff, v55
	v_and_b32_e32 v56, 0xff, v31
	;; [unrolled: 1-line block ×3, first 2 shown]
	v_mul_lo_u16 v36, v57, 13
	v_sub_nc_u16 v39, v39, v40
	v_mad_u32_u24 v47, 0x138, v47, 0
	v_lshlrev_b32_e32 v31, 4, v56
	v_lshlrev_b32_e32 v37, 4, v65
	v_sub_nc_u16 v41, v35, v36
	v_lshlrev_b32_e32 v56, 3, v56
	v_mad_u32_u24 v55, 0x138, v55, 0
	s_clause 0x1
	global_load_b128 v[31:34], v31, s[8:9]
	global_load_b128 v[35:38], v37, s[8:9]
	v_and_b32_e32 v66, 0xff, v41
	v_and_b32_e32 v67, 0xff, v39
	;; [unrolled: 1-line block ×4, first 2 shown]
	v_add3_u32 v47, v47, v56, v51
	v_lshlrev_b32_e32 v39, 4, v66
	v_lshlrev_b32_e32 v56, 3, v66
	v_mad_u32_u24 v57, 0x138, v57, 0
	v_mad_u32_u24 v58, 0x138, v58, 0
	s_delay_alu instid0(VALU_DEP_2) | instskip(SKIP_3) | instid1(VALU_DEP_2)
	v_add3_u32 v56, v57, v56, v51
	s_wait_loadcnt_dscnt 0x6
	v_mul_f32_e32 v66, v36, v25
	v_dual_mul_f32 v36, v36, v24 :: v_dual_lshlrev_b32 v65, 3, v65
	v_fmac_f32_e32 v66, v35, v24
	s_delay_alu instid0(VALU_DEP_2) | instskip(SKIP_1) | instid1(VALU_DEP_1)
	v_add3_u32 v55, v55, v65, v51
	v_lshlrev_b32_e32 v65, 3, v67
	v_add3_u32 v57, v58, v65, v51
	v_mul_f32_e32 v58, v32, v23
	v_lshlrev_b32_e32 v43, 4, v67
	s_wait_dscnt 0x5
	v_mul_f32_e32 v67, v38, v21
	v_mul_f32_e32 v38, v38, v20
	;; [unrolled: 1-line block ×3, first 2 shown]
	v_fmac_f32_e32 v58, v31, v22
	s_clause 0x1
	global_load_b128 v[39:42], v39, s[8:9]
	global_load_b128 v[43:46], v43, s[8:9]
	v_mul_f32_e32 v65, v34, v19
	v_dual_mul_f32 v34, v34, v18 :: v_dual_fmac_f32 v67, v37, v20
	v_fma_f32 v20, v37, v21, -v38
	v_fma_f32 v22, v31, v23, -v32
	s_delay_alu instid0(VALU_DEP_4) | instskip(NEXT) | instid1(VALU_DEP_4)
	v_fmac_f32_e32 v65, v33, v18
	v_fma_f32 v18, v33, v19, -v34
	v_fma_f32 v19, v35, v25, -v36
	global_wb scope:SCOPE_SE
	s_wait_loadcnt_dscnt 0x0
	s_barrier_signal -1
	s_barrier_wait -1
	global_inv scope:SCOPE_SE
	v_sub_f32_e32 v36, v66, v67
	v_mul_f32_e32 v21, v40, v11
	v_dual_mul_f32 v23, v40, v10 :: v_dual_mul_f32 v24, v42, v15
	v_mul_f32_e32 v31, v44, v13
	v_mul_f32_e32 v32, v44, v12
	;; [unrolled: 1-line block ×3, first 2 shown]
	v_fmac_f32_e32 v21, v39, v10
	v_add_f32_e32 v10, v28, v58
	v_mul_f32_e32 v25, v42, v14
	v_mul_f32_e32 v33, v17, v46
	v_fma_f32 v23, v39, v11, -v23
	v_dual_fmac_f32 v24, v41, v14 :: v_dual_fmac_f32 v31, v43, v12
	v_add_f32_e32 v12, v29, v22
	v_fma_f32 v14, v43, v13, -v32
	v_fma_f32 v32, v17, v45, -v34
	v_dual_add_f32 v17, v0, v66 :: v_dual_add_f32 v10, v10, v65
	v_dual_add_f32 v11, v58, v65 :: v_dual_sub_f32 v34, v19, v20
	v_fma_f32 v25, v41, v15, -v25
	v_sub_f32_e32 v15, v22, v18
	v_add_f32_e32 v13, v22, v18
	v_add_f32_e32 v22, v66, v67
	;; [unrolled: 1-line block ×3, first 2 shown]
	v_fma_f32 v28, -0.5, v11, v28
	v_add_f32_e32 v19, v19, v20
	v_dual_add_f32 v11, v12, v18 :: v_dual_sub_f32 v38, v14, v32
	v_add_f32_e32 v18, v6, v21
	v_fmac_f32_e32 v33, v16, v45
	v_fma_f32 v0, -0.5, v22, v0
	v_add_f32_e32 v22, v23, v25
	v_dual_fmac_f32 v29, -0.5, v13 :: v_dual_add_f32 v40, v14, v32
	v_add_f32_e32 v13, v35, v20
	v_dual_sub_f32 v35, v23, v25 :: v_dual_add_f32 v18, v18, v24
	v_dual_add_f32 v20, v7, v23 :: v_dual_sub_f32 v37, v21, v24
	v_dual_add_f32 v39, v9, v14 :: v_dual_fmamk_f32 v14, v15, 0xbf5db3d7, v28
	v_fmac_f32_e32 v28, 0x3f5db3d7, v15
	v_fmac_f32_e32 v1, -0.5, v19
	v_dual_add_f32 v19, v21, v24 :: v_dual_sub_f32 v16, v58, v65
	v_add_f32_e32 v21, v8, v31
	v_fma_f32 v7, -0.5, v22, v7
	v_fmac_f32_e32 v9, -0.5, v40
	s_delay_alu instid0(VALU_DEP_4) | instskip(SKIP_1) | instid1(VALU_DEP_2)
	v_fma_f32 v6, -0.5, v19, v6
	v_dual_add_f32 v23, v31, v33 :: v_dual_add_f32 v12, v17, v67
	v_dual_add_f32 v19, v20, v25 :: v_dual_fmamk_f32 v22, v35, 0xbf5db3d7, v6
	v_fmac_f32_e32 v6, 0x3f5db3d7, v35
	s_delay_alu instid0(VALU_DEP_3) | instskip(SKIP_2) | instid1(VALU_DEP_3)
	v_fma_f32 v8, -0.5, v23, v8
	v_sub_f32_e32 v31, v31, v33
	v_fmamk_f32 v23, v37, 0x3f5db3d7, v7
	v_dual_fmac_f32 v7, 0xbf5db3d7, v37 :: v_dual_fmamk_f32 v24, v38, 0xbf5db3d7, v8
	v_dual_fmac_f32 v8, 0x3f5db3d7, v38 :: v_dual_fmamk_f32 v15, v16, 0x3f5db3d7, v29
	v_dual_add_f32 v20, v21, v33 :: v_dual_fmac_f32 v29, 0xbf5db3d7, v16
	v_fmamk_f32 v16, v34, 0xbf5db3d7, v0
	v_dual_fmac_f32 v0, 0x3f5db3d7, v34 :: v_dual_fmamk_f32 v17, v36, 0x3f5db3d7, v1
	v_fmac_f32_e32 v1, 0xbf5db3d7, v36
	v_add_f32_e32 v21, v39, v32
	v_fmamk_f32 v25, v31, 0x3f5db3d7, v9
	v_fmac_f32_e32 v9, 0xbf5db3d7, v31
	ds_store_2addr_b64 v47, v[10:11], v[14:15] offset1:13
	ds_store_b64 v47, v[28:29] offset:208
	ds_store_2addr_b64 v55, v[12:13], v[16:17] offset1:13
	ds_store_b64 v55, v[0:1] offset:208
	;; [unrolled: 2-line block ×4, first 2 shown]
	s_and_saveexec_b32 s1, s0
	s_cbranch_execz .LBB0_18
; %bb.17:
	v_add_nc_u16 v0, v50, 0x9c
	s_delay_alu instid0(VALU_DEP_1) | instskip(NEXT) | instid1(VALU_DEP_1)
	v_and_b32_e32 v1, 0xff, v0
	v_mul_lo_u16 v1, 0x4f, v1
	s_delay_alu instid0(VALU_DEP_1) | instskip(NEXT) | instid1(VALU_DEP_1)
	v_lshrrev_b16 v1, 10, v1
	v_mul_lo_u16 v6, v1, 13
	s_delay_alu instid0(VALU_DEP_1) | instskip(NEXT) | instid1(VALU_DEP_1)
	v_sub_nc_u16 v0, v0, v6
	v_and_b32_e32 v0, 0xff, v0
	s_delay_alu instid0(VALU_DEP_1)
	v_lshlrev_b32_e32 v6, 4, v0
	global_load_b128 v[6:9], v6, s[8:9]
	s_wait_loadcnt 0x0
	v_mul_f32_e32 v10, v4, v7
	v_mul_f32_e32 v7, v5, v7
	;; [unrolled: 1-line block ×4, first 2 shown]
	s_delay_alu instid0(VALU_DEP_4) | instskip(NEXT) | instid1(VALU_DEP_3)
	v_fma_f32 v5, v5, v6, -v10
	v_fma_f32 v10, v27, v8, -v11
	s_delay_alu instid0(VALU_DEP_1) | instskip(SKIP_3) | instid1(VALU_DEP_4)
	v_dual_sub_f32 v12, v5, v10 :: v_dual_and_b32 v1, 0xffff, v1
	v_dual_fmac_f32 v7, v4, v6 :: v_dual_lshlrev_b32 v6, 3, v0
	v_dual_add_f32 v0, v5, v10 :: v_dual_add_f32 v5, v3, v5
	v_fmac_f32_e32 v9, v26, v8
	v_mad_u32_u24 v4, 0x138, v1, 0
	s_delay_alu instid0(VALU_DEP_3) | instskip(NEXT) | instid1(VALU_DEP_3)
	v_fma_f32 v1, -0.5, v0, v3
	v_add_f32_e32 v11, v7, v9
	s_delay_alu instid0(VALU_DEP_3) | instskip(NEXT) | instid1(VALU_DEP_2)
	v_add3_u32 v6, v4, v6, v51
	v_fma_f32 v0, -0.5, v11, v2
	s_delay_alu instid0(VALU_DEP_1) | instskip(SKIP_3) | instid1(VALU_DEP_2)
	v_fmamk_f32 v4, v12, 0x3f5db3d7, v0
	v_fmac_f32_e32 v0, 0xbf5db3d7, v12
	v_dual_sub_f32 v8, v7, v9 :: v_dual_add_f32 v7, v2, v7
	v_add_f32_e32 v3, v5, v10
	v_dual_fmamk_f32 v5, v8, 0xbf5db3d7, v1 :: v_dual_add_f32 v2, v7, v9
	v_fmac_f32_e32 v1, 0x3f5db3d7, v8
	ds_store_2addr_b64 v6, v[2:3], v[0:1] offset1:13
	ds_store_b64 v6, v[4:5] offset:208
.LBB0_18:
	s_wait_alu 0xfffe
	s_or_b32 exec_lo, exec_lo, s1
	v_mul_u32_u24_e32 v0, 6, v50
	global_wb scope:SCOPE_SE
	s_wait_dscnt 0x0
	s_barrier_signal -1
	s_barrier_wait -1
	global_inv scope:SCOPE_SE
	v_dual_mov_b32 v51, 0 :: v_dual_lshlrev_b32 v0, 3, v0
	v_add_nc_u32_e32 v6, 0x800, v62
	s_clause 0x2
	global_load_b128 v[8:11], v0, s[8:9] offset:208
	global_load_b128 v[12:15], v0, s[8:9] offset:224
	;; [unrolled: 1-line block ×3, first 2 shown]
	v_mov_b32_e32 v55, v51
	ds_load_2addr_b64 v[20:23], v62 offset0:78 offset1:117
	ds_load_2addr_b64 v[24:27], v62 offset0:156 offset1:195
	v_add_nc_u32_e32 v7, 0x400, v62
	ds_load_b64 v[28:29], v60
	ds_load_b64 v[56:57], v30
	v_lshlrev_b64_e32 v[0:1], 3, v[50:51]
	v_lshlrev_b64_e32 v[2:3], 3, v[54:55]
	s_delay_alu instid0(VALU_DEP_2) | instskip(SKIP_1) | instid1(VALU_DEP_3)
	v_add_co_u32 v4, s0, s8, v0
	s_wait_alu 0xf1ff
	v_add_co_ci_u32_e64 v5, s0, s9, v1, s0
	s_delay_alu instid0(VALU_DEP_3)
	v_add_co_u32 v2, s0, s8, v2
	s_wait_alu 0xf1ff
	v_add_co_ci_u32_e64 v3, s0, s9, v3, s0
	v_cmp_ne_u32_e64 s0, 0, v50
	s_wait_loadcnt_dscnt 0x202
	v_mul_f32_e32 v58, v11, v24
	ds_load_2addr_b64 v[31:34], v7 offset0:106 offset1:145
	ds_load_2addr_b64 v[35:38], v6 offset0:56 offset1:95
	;; [unrolled: 1-line block ×4, first 2 shown]
	v_mul_f32_e32 v47, v9, v21
	v_mul_f32_e32 v51, v9, v20
	;; [unrolled: 1-line block ×4, first 2 shown]
	global_wb scope:SCOPE_SE
	s_wait_loadcnt_dscnt 0x0
	s_barrier_signal -1
	s_barrier_wait -1
	global_inv scope:SCOPE_SE
	v_mul_f32_e32 v74, v27, v11
	s_delay_alu instid0(VALU_DEP_1)
	v_dual_fmac_f32 v74, v26, v10 :: v_dual_mul_f32 v65, v13, v32
	v_dual_mul_f32 v66, v13, v31 :: v_dual_mul_f32 v67, v15, v36
	v_mul_f32_e32 v76, v38, v15
	v_dual_mul_f32 v68, v15, v35 :: v_dual_mul_f32 v9, v22, v9
	v_mul_f32_e32 v69, v40, v17
	;; [unrolled: 2-line block ×3, first 2 shown]
	v_mul_f32_e32 v78, v46, v19
	v_fmac_f32_e32 v65, v12, v31
	v_fmac_f32_e32 v67, v14, v35
	;; [unrolled: 1-line block ×3, first 2 shown]
	v_fma_f32 v20, v8, v21, -v51
	v_fma_f32 v21, v10, v25, -v58
	;; [unrolled: 1-line block ×3, first 2 shown]
	v_dual_fmac_f32 v73, v22, v8 :: v_dual_fmac_f32 v76, v37, v14
	v_fma_f32 v8, v23, v8, -v9
	v_fmac_f32_e32 v55, v10, v24
	v_fma_f32 v24, v12, v32, -v66
	v_dual_mul_f32 v11, v26, v11 :: v_dual_fmac_f32 v78, v45, v18
	v_fma_f32 v31, v40, v16, -v70
	v_fma_f32 v32, v44, v18, -v72
	s_delay_alu instid0(VALU_DEP_4)
	v_dual_add_f32 v23, v24, v25 :: v_dual_sub_f32 v24, v25, v24
	v_fmac_f32_e32 v71, v43, v18
	v_sub_f32_e32 v26, v67, v65
	v_mul_f32_e32 v75, v34, v13
	v_mul_f32_e32 v13, v33, v13
	v_fma_f32 v9, v27, v10, -v11
	v_mul_f32_e32 v77, v42, v17
	s_delay_alu instid0(VALU_DEP_3) | instskip(SKIP_2) | instid1(VALU_DEP_1)
	v_fma_f32 v10, v34, v12, -v13
	v_fmac_f32_e32 v69, v39, v16
	v_mul_f32_e32 v19, v45, v19
	v_fma_f32 v13, v46, v18, -v19
	v_add_f32_e32 v19, v21, v31
	v_sub_f32_e32 v21, v21, v31
	s_delay_alu instid0(VALU_DEP_3) | instskip(SKIP_2) | instid1(VALU_DEP_4)
	v_add_f32_e32 v27, v8, v13
	v_dual_sub_f32 v8, v8, v13 :: v_dual_mul_f32 v15, v37, v15
	v_add_f32_e32 v18, v55, v69
	v_add_f32_e32 v40, v24, v21
	s_delay_alu instid0(VALU_DEP_3) | instskip(SKIP_1) | instid1(VALU_DEP_2)
	v_fma_f32 v11, v38, v14, -v15
	v_dual_add_f32 v14, v47, v71 :: v_dual_add_f32 v15, v20, v32
	v_dual_fmac_f32 v75, v33, v12 :: v_dual_add_f32 v34, v10, v11
	v_sub_f32_e32 v10, v11, v10
	s_delay_alu instid0(VALU_DEP_3) | instskip(NEXT) | instid1(VALU_DEP_4)
	v_dual_add_f32 v36, v19, v15 :: v_dual_mul_f32 v17, v41, v17
	v_sub_f32_e32 v37, v18, v14
	s_delay_alu instid0(VALU_DEP_2) | instskip(SKIP_2) | instid1(VALU_DEP_3)
	v_fma_f32 v12, v42, v16, -v17
	v_dual_sub_f32 v17, v20, v32 :: v_dual_sub_f32 v20, v55, v69
	v_sub_f32_e32 v42, v24, v21
	v_add_f32_e32 v32, v9, v12
	s_delay_alu instid0(VALU_DEP_3) | instskip(SKIP_1) | instid1(VALU_DEP_3)
	v_dual_add_f32 v22, v65, v67 :: v_dual_add_f32 v39, v26, v20
	v_add_f32_e32 v11, v18, v14
	v_dual_sub_f32 v31, v73, v78 :: v_dual_add_f32 v44, v32, v27
	s_delay_alu instid0(VALU_DEP_3) | instskip(SKIP_3) | instid1(VALU_DEP_4)
	v_dual_sub_f32 v14, v14, v22 :: v_dual_fmac_f32 v77, v41, v16
	v_sub_f32_e32 v38, v19, v15
	v_dual_sub_f32 v16, v47, v71 :: v_dual_add_f32 v25, v73, v78
	v_sub_f32_e32 v41, v26, v20
	v_dual_add_f32 v13, v74, v77 :: v_dual_sub_f32 v46, v32, v27
	s_delay_alu instid0(VALU_DEP_3)
	v_sub_f32_e32 v26, v16, v26
	v_sub_f32_e32 v20, v20, v16
	v_add_f32_e32 v16, v39, v16
	v_sub_f32_e32 v9, v9, v12
	v_add_f32_e32 v12, v75, v76
	;; [unrolled: 2-line block ×3, first 2 shown]
	s_delay_alu instid0(VALU_DEP_4)
	v_dual_sub_f32 v33, v74, v77 :: v_dual_sub_f32 v66, v9, v8
	v_dual_sub_f32 v35, v76, v75 :: v_dual_sub_f32 v58, v10, v9
	v_dual_add_f32 v51, v10, v9 :: v_dual_sub_f32 v24, v17, v24
	v_sub_f32_e32 v15, v15, v23
	v_sub_f32_e32 v19, v23, v19
	;; [unrolled: 1-line block ×3, first 2 shown]
	v_add_f32_e32 v43, v13, v25
	v_sub_f32_e32 v45, v13, v25
	v_dual_sub_f32 v13, v12, v13 :: v_dual_sub_f32 v32, v34, v32
	v_sub_f32_e32 v27, v27, v34
	v_sub_f32_e32 v65, v8, v10
	v_add_f32_e32 v17, v40, v17
	v_dual_add_f32 v23, v23, v36 :: v_dual_mul_f32 v10, 0x3f4a47b2, v14
	v_mul_f32_e32 v14, 0x3d64c772, v18
	v_dual_mul_f32 v39, 0x3f08b237, v42 :: v_dual_add_f32 v42, v51, v8
	v_mul_f32_e32 v51, 0x3f08b237, v58
	v_mul_f32_e32 v58, 0xbf5ff5aa, v66
	v_mul_f32_e32 v36, 0x3f08b237, v41
	v_add_f32_e32 v8, v22, v28
	v_dual_sub_f32 v25, v25, v12 :: v_dual_fmamk_f32 v18, v18, 0x3d64c772, v10
	v_dual_add_f32 v47, v35, v33 :: v_dual_mul_f32 v40, 0xbf5ff5aa, v20
	v_add_f32_e32 v34, v34, v44
	v_add_f32_e32 v12, v12, v43
	v_mul_f32_e32 v44, 0x3d64c772, v32
	v_mul_f32_e32 v27, 0x3f4a47b2, v27
	v_sub_f32_e32 v55, v35, v33
	v_dual_sub_f32 v35, v31, v35 :: v_dual_fmamk_f32 v22, v22, 0xbf955555, v8
	v_fma_f32 v14, 0x3f3bfb3b, v37, -v14
	v_mul_f32_e32 v11, 0x3f4a47b2, v15
	v_fma_f32 v28, 0xbf3bfb3b, v37, -v10
	v_mul_f32_e32 v15, 0x3d64c772, v19
	v_fma_f32 v20, 0xbf5ff5aa, v20, -v36
	v_dual_add_f32 v10, v12, v56 :: v_dual_add_f32 v9, v23, v29
	v_fma_f32 v29, 0xbf3bfb3b, v38, -v11
	s_delay_alu instid0(VALU_DEP_4) | instskip(SKIP_1) | instid1(VALU_DEP_4)
	v_fma_f32 v15, 0x3f3bfb3b, v38, -v15
	v_fmamk_f32 v38, v24, 0xbeae86e6, v39
	v_fmamk_f32 v12, v12, 0xbf955555, v10
	v_dual_fmac_f32 v20, 0xbee1c552, v16 :: v_dual_sub_f32 v33, v33, v31
	v_fmamk_f32 v32, v32, 0x3d64c772, v27
	s_delay_alu instid0(VALU_DEP_4)
	v_fmac_f32_e32 v38, 0xbee1c552, v17
	v_fmamk_f32 v37, v26, 0xbeae86e6, v36
	v_fma_f32 v26, 0x3eae86e6, v26, -v40
	v_add_f32_e32 v31, v47, v31
	v_mul_f32_e32 v47, 0x3f08b237, v55
	v_mul_f32_e32 v55, 0xbf5ff5aa, v33
	s_delay_alu instid0(VALU_DEP_4) | instskip(NEXT) | instid1(VALU_DEP_3)
	v_fmac_f32_e32 v26, 0xbee1c552, v16
	v_fmamk_f32 v40, v35, 0xbeae86e6, v47
	v_fma_f32 v33, 0xbf5ff5aa, v33, -v47
	s_delay_alu instid0(VALU_DEP_4) | instskip(NEXT) | instid1(VALU_DEP_3)
	v_fma_f32 v35, 0x3eae86e6, v35, -v55
	v_dual_fmac_f32 v37, 0xbee1c552, v16 :: v_dual_fmac_f32 v40, 0xbee1c552, v31
	s_delay_alu instid0(VALU_DEP_2) | instskip(NEXT) | instid1(VALU_DEP_4)
	v_fmac_f32_e32 v35, 0xbee1c552, v31
	v_fmac_f32_e32 v33, 0xbee1c552, v31
	v_add_f32_e32 v31, v18, v22
	v_dual_add_f32 v18, v14, v22 :: v_dual_fmamk_f32 v19, v19, 0x3d64c772, v11
	v_dual_add_f32 v11, v34, v57 :: v_dual_add_f32 v22, v28, v22
	s_delay_alu instid0(VALU_DEP_1) | instskip(SKIP_1) | instid1(VALU_DEP_1)
	v_fmamk_f32 v16, v34, 0xbf955555, v11
	v_mul_f32_e32 v43, 0x3d64c772, v13
	v_fma_f32 v36, 0x3f3bfb3b, v45, -v43
	v_mul_f32_e32 v25, 0x3f4a47b2, v25
	v_fma_f32 v43, 0xbf5ff5aa, v66, -v51
	s_delay_alu instid0(VALU_DEP_2) | instskip(SKIP_2) | instid1(VALU_DEP_2)
	v_fmamk_f32 v13, v13, 0x3d64c772, v25
	v_mul_f32_e32 v41, 0xbf5ff5aa, v21
	v_fma_f32 v25, 0xbf3bfb3b, v45, -v25
	v_fma_f32 v24, 0x3eae86e6, v24, -v41
	s_delay_alu instid0(VALU_DEP_1) | instskip(NEXT) | instid1(VALU_DEP_1)
	v_fmac_f32_e32 v24, 0xbee1c552, v17
	v_dual_fmamk_f32 v23, v23, 0xbf955555, v9 :: v_dual_add_f32 v14, v24, v22
	s_delay_alu instid0(VALU_DEP_1)
	v_add_f32_e32 v34, v19, v23
	v_fma_f32 v21, 0xbf5ff5aa, v21, -v39
	v_fma_f32 v39, 0x3f3bfb3b, v46, -v44
	;; [unrolled: 1-line block ×3, first 2 shown]
	v_add_f32_e32 v19, v15, v23
	v_add_f32_e32 v23, v29, v23
	;; [unrolled: 1-line block ×3, first 2 shown]
	v_fmac_f32_e32 v43, 0xbee1c552, v42
	v_fmac_f32_e32 v44, 0xbee1c552, v42
	v_dual_add_f32 v32, v36, v12 :: v_dual_fmac_f32 v21, 0xbee1c552, v17
	v_add_f32_e32 v36, v39, v16
	v_fma_f32 v27, 0xbf3bfb3b, v46, -v27
	v_add_f32_e32 v39, v25, v12
	v_fmamk_f32 v41, v65, 0xbeae86e6, v51
	v_sub_f32_e32 v15, v23, v26
	s_delay_alu instid0(VALU_DEP_4)
	v_dual_add_f32 v17, v20, v19 :: v_dual_add_f32 v46, v27, v16
	v_sub_f32_e32 v19, v19, v20
	v_sub_f32_e32 v20, v22, v24
	v_sub_f32_e32 v28, v32, v43
	v_sub_f32_e32 v16, v18, v21
	v_dual_add_f32 v18, v21, v18 :: v_dual_add_f32 v21, v26, v23
	v_dual_add_f32 v26, v44, v39 :: v_dual_fmac_f32 v41, 0xbee1c552, v42
	v_add_f32_e32 v42, v13, v12
	v_add_f32_e32 v12, v38, v31
	v_dual_sub_f32 v13, v34, v37 :: v_dual_sub_f32 v22, v31, v38
	v_add_f32_e32 v23, v37, v34
	v_sub_f32_e32 v25, v45, v40
	v_sub_f32_e32 v27, v46, v35
	v_add_f32_e32 v31, v43, v32
	v_dual_add_f32 v34, v35, v46 :: v_dual_add_f32 v29, v33, v36
	v_sub_f32_e32 v32, v36, v33
	v_dual_add_f32 v24, v41, v42 :: v_dual_sub_f32 v35, v42, v41
	v_dual_add_f32 v36, v40, v45 :: v_dual_sub_f32 v33, v39, v44
	ds_store_2addr_b64 v62, v[8:9], v[12:13] offset1:39
	ds_store_2addr_b64 v62, v[14:15], v[16:17] offset0:78 offset1:117
	ds_store_2addr_b64 v62, v[18:19], v[20:21] offset0:156 offset1:195
	;; [unrolled: 1-line block ×6, first 2 shown]
	global_wb scope:SCOPE_SE
	s_wait_dscnt 0x0
	s_barrier_signal -1
	s_barrier_wait -1
	global_inv scope:SCOPE_SE
	s_clause 0x6
	global_load_b64 v[27:28], v[4:5], off offset:2080
	global_load_b64 v[35:36], v[2:3], off offset:2080
	;; [unrolled: 1-line block ×7, first 2 shown]
	ds_load_2addr_b64 v[7:10], v7 offset0:106 offset1:145
	ds_load_2addr_b64 v[11:14], v6 offset0:56 offset1:95
	;; [unrolled: 1-line block ×4, first 2 shown]
	ds_load_b64 v[55:56], v60
	ds_load_b64 v[57:58], v30
	ds_load_2addr_b64 v[23:26], v62 offset0:78 offset1:117
	ds_load_2addr_b64 v[31:34], v62 offset0:156 offset1:195
	v_lshl_add_u32 v29, v63, 3, v64
	global_wb scope:SCOPE_SE
	s_wait_loadcnt_dscnt 0x0
	s_barrier_signal -1
	s_barrier_wait -1
	global_inv scope:SCOPE_SE
	v_mul_f32_e32 v6, v28, v10
	v_mul_f32_e32 v28, v28, v9
	v_mul_f32_e32 v51, v36, v12
	v_mul_f32_e32 v36, v36, v11
	v_mul_f32_e32 v64, v40, v16
	v_dual_mul_f32 v40, v40, v15 :: v_dual_mul_f32 v63, v38, v14
	v_mul_f32_e32 v38, v38, v13
	v_mul_f32_e32 v66, v20, v44
	v_dual_mul_f32 v44, v19, v44 :: v_dual_mul_f32 v67, v22, v46
	v_mul_f32_e32 v46, v21, v46
	v_mul_f32_e32 v65, v42, v18
	;; [unrolled: 1-line block ×3, first 2 shown]
	v_fmac_f32_e32 v6, v27, v9
	v_fma_f32 v10, v27, v10, -v28
	v_fma_f32 v12, v35, v12, -v36
	;; [unrolled: 1-line block ×3, first 2 shown]
	v_fmac_f32_e32 v51, v35, v11
	v_fma_f32 v14, v37, v14, -v38
	v_fmac_f32_e32 v64, v39, v15
	v_fma_f32 v20, v20, v43, -v44
	v_dual_sub_f32 v16, v26, v16 :: v_dual_fmac_f32 v63, v37, v13
	v_fmac_f32_e32 v67, v21, v45
	v_fma_f32 v22, v22, v45, -v46
	s_delay_alu instid0(VALU_DEP_4)
	v_dual_sub_f32 v20, v34, v20 :: v_dual_fmac_f32 v65, v41, v17
	v_fma_f32 v18, v41, v18, -v42
	v_fmac_f32_e32 v66, v19, v43
	v_sub_f32_e32 v9, v55, v6
	v_dual_sub_f32 v10, v56, v10 :: v_dual_add_nc_u32 v47, 0x800, v29
	v_dual_sub_f32 v12, v58, v12 :: v_dual_sub_f32 v11, v57, v51
	v_dual_sub_f32 v13, v23, v63 :: v_dual_sub_f32 v14, v24, v14
	v_sub_f32_e32 v15, v25, v64
	v_dual_sub_f32 v21, v7, v67 :: v_dual_sub_f32 v22, v8, v22
	v_dual_sub_f32 v17, v31, v65 :: v_dual_sub_f32 v18, v32, v18
	v_sub_f32_e32 v19, v33, v66
	v_fma_f32 v27, v55, 2.0, -v9
	v_fma_f32 v28, v56, 2.0, -v10
	;; [unrolled: 1-line block ×14, first 2 shown]
	ds_store_b64 v62, v[27:28]
	ds_store_b64 v62, v[9:10] offset:2184
	ds_store_b64 v30, v[35:36]
	ds_store_b64 v30, v[11:12] offset:2184
	ds_store_2addr_b64 v62, v[23:24], v[25:26] offset0:78 offset1:117
	ds_store_2addr_b64 v47, v[13:14], v[15:16] offset0:95 offset1:134
	;; [unrolled: 1-line block ×4, first 2 shown]
	ds_store_b64 v62, v[6:7] offset:1872
	ds_store_b64 v29, v[21:22] offset:4056
	global_wb scope:SCOPE_SE
	s_wait_dscnt 0x0
	s_barrier_signal -1
	s_barrier_wait -1
	global_inv scope:SCOPE_SE
	ds_load_b64 v[6:7], v60
	v_sub_nc_u32_e32 v8, v59, v61
                                        ; implicit-def: $vgpr10
                                        ; implicit-def: $vgpr9
	s_and_saveexec_b32 s1, s0
	s_wait_alu 0xfffe
	s_xor_b32 s0, exec_lo, s1
	s_cbranch_execz .LBB0_20
; %bb.19:
	global_load_b64 v[4:5], v[4:5], off offset:4264
	ds_load_b64 v[9:10], v8 offset:4368
	s_wait_dscnt 0x0
	v_dual_sub_f32 v11, v6, v9 :: v_dual_add_f32 v6, v9, v6
	v_dual_add_f32 v12, v10, v7 :: v_dual_sub_f32 v7, v7, v10
	s_delay_alu instid0(VALU_DEP_1) | instskip(SKIP_1) | instid1(VALU_DEP_1)
	v_dual_mul_f32 v10, 0.5, v11 :: v_dual_mul_f32 v11, 0.5, v12
	s_wait_loadcnt 0x0
	v_dual_mul_f32 v7, 0.5, v7 :: v_dual_mul_f32 v12, v5, v10
	s_delay_alu instid0(VALU_DEP_1) | instskip(SKIP_1) | instid1(VALU_DEP_3)
	v_fma_f32 v13, v11, v5, v7
	v_fma_f32 v5, v11, v5, -v7
	v_fma_f32 v9, 0.5, v6, v12
	v_fma_f32 v6, v6, 0.5, -v12
	s_delay_alu instid0(VALU_DEP_4) | instskip(NEXT) | instid1(VALU_DEP_4)
	v_fma_f32 v7, -v4, v10, v13
	v_fma_f32 v5, -v4, v10, v5
	ds_store_b32 v60, v7 offset:4
	ds_store_b32 v8, v5 offset:4372
	v_fmac_f32_e32 v9, v4, v11
	v_fma_f32 v10, -v4, v11, v6
                                        ; implicit-def: $vgpr6_vgpr7
.LBB0_20:
	s_wait_alu 0xfffe
	s_and_not1_saveexec_b32 s0, s0
	s_cbranch_execz .LBB0_22
; %bb.21:
	s_wait_dscnt 0x0
	v_dual_mov_b32 v4, 0 :: v_dual_add_f32 v9, v6, v7
	v_sub_f32_e32 v10, v6, v7
	ds_store_b32 v60, v4 offset:4
	ds_store_b32 v8, v4 offset:4372
	ds_load_b32 v4, v59 offset:2188
	s_wait_dscnt 0x0
	v_xor_b32_e32 v4, 0x80000000, v4
	ds_store_b32 v59, v4 offset:2188
.LBB0_22:
	s_wait_alu 0xfffe
	s_or_b32 exec_lo, exec_lo, s0
	global_load_b64 v[2:3], v[2:3], off offset:4264
	s_add_nc_u64 s[0:1], s[8:9], 0x10a8
	v_lshl_add_u32 v17, v54, 3, v59
	s_wait_alu 0xfffe
	v_add_co_u32 v0, s0, s0, v0
	s_wait_alu 0xf1ff
	v_add_co_ci_u32_e64 v1, s0, s1, v1, s0
	global_load_b64 v[4:5], v[0:1], off offset:624
	s_wait_dscnt 0x0
	s_clause 0x3
	global_load_b64 v[6:7], v[0:1], off offset:936
	global_load_b64 v[11:12], v[0:1], off offset:1248
	;; [unrolled: 1-line block ×4, first 2 shown]
	ds_store_b32 v60, v9
	ds_store_b32 v8, v10 offset:4368
	ds_load_b64 v[9:10], v17
	ds_load_b64 v[15:16], v8 offset:4056
	s_wait_dscnt 0x0
	v_dual_sub_f32 v18, v9, v15 :: v_dual_add_f32 v19, v10, v16
	v_dual_sub_f32 v10, v10, v16 :: v_dual_add_f32 v9, v9, v15
	s_delay_alu instid0(VALU_DEP_2) | instskip(NEXT) | instid1(VALU_DEP_3)
	v_mul_f32_e32 v16, 0.5, v18
	v_mul_f32_e32 v18, 0.5, v19
	s_wait_loadcnt 0x5
	s_delay_alu instid0(VALU_DEP_2) | instskip(NEXT) | instid1(VALU_DEP_1)
	v_dual_mul_f32 v10, 0.5, v10 :: v_dual_mul_f32 v15, v3, v16
	v_fma_f32 v19, v18, v3, v10
	v_fma_f32 v3, v18, v3, -v10
	s_delay_alu instid0(VALU_DEP_3) | instskip(SKIP_1) | instid1(VALU_DEP_4)
	v_fma_f32 v10, 0.5, v9, v15
	v_fma_f32 v9, v9, 0.5, -v15
	v_fma_f32 v15, -v2, v16, v19
	s_delay_alu instid0(VALU_DEP_4) | instskip(NEXT) | instid1(VALU_DEP_4)
	v_fma_f32 v3, -v2, v16, v3
	v_fmac_f32_e32 v10, v2, v18
	s_delay_alu instid0(VALU_DEP_4)
	v_fma_f32 v2, -v2, v18, v9
	ds_store_2addr_b32 v17, v10, v15 offset1:1
	ds_store_b64 v8, v[2:3] offset:4056
	ds_load_b64 v[2:3], v60 offset:624
	ds_load_b64 v[9:10], v8 offset:3744
	s_wait_dscnt 0x0
	v_dual_sub_f32 v15, v2, v9 :: v_dual_add_f32 v16, v3, v10
	s_delay_alu instid0(VALU_DEP_1) | instskip(NEXT) | instid1(VALU_DEP_2)
	v_dual_sub_f32 v3, v3, v10 :: v_dual_mul_f32 v10, 0.5, v15
	v_mul_f32_e32 v15, 0.5, v16
	s_delay_alu instid0(VALU_DEP_2) | instskip(SKIP_1) | instid1(VALU_DEP_3)
	v_dual_mul_f32 v3, 0.5, v3 :: v_dual_add_f32 v2, v2, v9
	s_wait_loadcnt 0x4
	v_mul_f32_e32 v9, v5, v10
	s_delay_alu instid0(VALU_DEP_2) | instskip(SKIP_1) | instid1(VALU_DEP_3)
	v_fma_f32 v16, v15, v5, v3
	v_fma_f32 v3, v15, v5, -v3
	v_fma_f32 v5, 0.5, v2, v9
	v_fma_f32 v2, v2, 0.5, -v9
	s_delay_alu instid0(VALU_DEP_4) | instskip(NEXT) | instid1(VALU_DEP_4)
	v_fma_f32 v9, -v4, v10, v16
	v_fma_f32 v3, -v4, v10, v3
	s_delay_alu instid0(VALU_DEP_4) | instskip(NEXT) | instid1(VALU_DEP_4)
	v_fmac_f32_e32 v5, v4, v15
	v_fma_f32 v2, -v4, v15, v2
	ds_store_2addr_b32 v60, v5, v9 offset0:156 offset1:157
	ds_store_b64 v8, v[2:3] offset:3744
	ds_load_b64 v[2:3], v60 offset:936
	ds_load_b64 v[4:5], v8 offset:3432
	s_wait_dscnt 0x0
	v_dual_sub_f32 v9, v2, v4 :: v_dual_add_f32 v10, v3, v5
	v_dual_sub_f32 v3, v3, v5 :: v_dual_add_f32 v2, v2, v4
	s_delay_alu instid0(VALU_DEP_2) | instskip(NEXT) | instid1(VALU_DEP_3)
	v_mul_f32_e32 v5, 0.5, v9
	v_mul_f32_e32 v9, 0.5, v10
	s_wait_loadcnt 0x3
	s_delay_alu instid0(VALU_DEP_2) | instskip(NEXT) | instid1(VALU_DEP_1)
	v_dual_mul_f32 v3, 0.5, v3 :: v_dual_mul_f32 v4, v7, v5
	v_fma_f32 v10, v9, v7, v3
	v_fma_f32 v3, v9, v7, -v3
	s_delay_alu instid0(VALU_DEP_3) | instskip(SKIP_1) | instid1(VALU_DEP_4)
	v_fma_f32 v7, 0.5, v2, v4
	v_fma_f32 v2, v2, 0.5, -v4
	v_fma_f32 v4, -v6, v5, v10
	s_delay_alu instid0(VALU_DEP_4) | instskip(NEXT) | instid1(VALU_DEP_4)
	v_fma_f32 v3, -v6, v5, v3
	v_dual_fmac_f32 v7, v6, v9 :: v_dual_add_nc_u32 v10, 0x400, v60
	s_delay_alu instid0(VALU_DEP_4)
	v_fma_f32 v2, -v6, v9, v2
	ds_store_2addr_b32 v60, v7, v4 offset0:234 offset1:235
	ds_store_b64 v8, v[2:3] offset:3432
	ds_load_b64 v[2:3], v60 offset:1248
	ds_load_b64 v[4:5], v8 offset:3120
	s_wait_dscnt 0x0
	v_dual_sub_f32 v6, v2, v4 :: v_dual_add_f32 v7, v3, v5
	v_dual_sub_f32 v3, v3, v5 :: v_dual_add_f32 v2, v2, v4
	s_delay_alu instid0(VALU_DEP_2) | instskip(SKIP_1) | instid1(VALU_DEP_1)
	v_dual_mul_f32 v5, 0.5, v6 :: v_dual_mul_f32 v6, 0.5, v7
	s_wait_loadcnt 0x2
	v_dual_mul_f32 v3, 0.5, v3 :: v_dual_mul_f32 v4, v12, v5
	s_delay_alu instid0(VALU_DEP_1) | instskip(SKIP_1) | instid1(VALU_DEP_3)
	v_fma_f32 v7, v6, v12, v3
	v_fma_f32 v3, v6, v12, -v3
	v_fma_f32 v9, 0.5, v2, v4
	v_fma_f32 v2, v2, 0.5, -v4
	s_delay_alu instid0(VALU_DEP_4) | instskip(NEXT) | instid1(VALU_DEP_4)
	v_fma_f32 v4, -v11, v5, v7
	v_fma_f32 v3, -v11, v5, v3
	s_delay_alu instid0(VALU_DEP_4) | instskip(NEXT) | instid1(VALU_DEP_4)
	v_fmac_f32_e32 v9, v11, v6
	v_fma_f32 v2, -v11, v6, v2
	ds_store_2addr_b32 v10, v9, v4 offset0:56 offset1:57
	ds_store_b64 v8, v[2:3] offset:3120
	ds_load_b64 v[2:3], v60 offset:1560
	ds_load_b64 v[4:5], v8 offset:2808
	s_wait_dscnt 0x0
	v_sub_f32_e32 v6, v2, v4
	v_dual_add_f32 v2, v2, v4 :: v_dual_add_f32 v7, v3, v5
	v_sub_f32_e32 v3, v3, v5
	s_delay_alu instid0(VALU_DEP_2) | instskip(SKIP_1) | instid1(VALU_DEP_1)
	v_dual_mul_f32 v5, 0.5, v6 :: v_dual_mul_f32 v6, 0.5, v7
	s_wait_loadcnt 0x1
	v_dual_mul_f32 v3, 0.5, v3 :: v_dual_mul_f32 v4, v14, v5
	s_delay_alu instid0(VALU_DEP_1) | instskip(SKIP_1) | instid1(VALU_DEP_3)
	v_fma_f32 v7, v6, v14, v3
	v_fma_f32 v3, v6, v14, -v3
	v_fma_f32 v9, 0.5, v2, v4
	v_fma_f32 v2, v2, 0.5, -v4
	s_delay_alu instid0(VALU_DEP_4) | instskip(NEXT) | instid1(VALU_DEP_4)
	v_fma_f32 v4, -v13, v5, v7
	v_fma_f32 v3, -v13, v5, v3
	s_delay_alu instid0(VALU_DEP_4) | instskip(NEXT) | instid1(VALU_DEP_4)
	v_fmac_f32_e32 v9, v13, v6
	v_fma_f32 v2, -v13, v6, v2
	ds_store_2addr_b32 v10, v9, v4 offset0:134 offset1:135
	ds_store_b64 v8, v[2:3] offset:2808
	ds_load_b64 v[2:3], v60 offset:1872
	ds_load_b64 v[4:5], v8 offset:2496
	s_wait_dscnt 0x0
	v_dual_sub_f32 v6, v2, v4 :: v_dual_add_f32 v7, v3, v5
	v_dual_sub_f32 v3, v3, v5 :: v_dual_add_f32 v2, v2, v4
	s_delay_alu instid0(VALU_DEP_2) | instskip(SKIP_1) | instid1(VALU_DEP_1)
	v_dual_mul_f32 v5, 0.5, v6 :: v_dual_mul_f32 v6, 0.5, v7
	s_wait_loadcnt 0x0
	v_dual_mul_f32 v3, 0.5, v3 :: v_dual_mul_f32 v4, v1, v5
	s_delay_alu instid0(VALU_DEP_1) | instskip(SKIP_1) | instid1(VALU_DEP_3)
	v_fma_f32 v7, v6, v1, v3
	v_fma_f32 v1, v6, v1, -v3
	v_fma_f32 v3, 0.5, v2, v4
	v_fma_f32 v2, v2, 0.5, -v4
	s_delay_alu instid0(VALU_DEP_4) | instskip(NEXT) | instid1(VALU_DEP_4)
	v_fma_f32 v4, -v0, v5, v7
	v_fma_f32 v1, -v0, v5, v1
	s_delay_alu instid0(VALU_DEP_4) | instskip(NEXT) | instid1(VALU_DEP_4)
	v_fmac_f32_e32 v3, v0, v6
	v_fma_f32 v0, -v0, v6, v2
	ds_store_2addr_b32 v10, v3, v4 offset0:212 offset1:213
	ds_store_b64 v8, v[0:1] offset:2496
	global_wb scope:SCOPE_SE
	s_wait_dscnt 0x0
	s_barrier_signal -1
	s_barrier_wait -1
	global_inv scope:SCOPE_SE
	s_and_saveexec_b32 s0, vcc_lo
	s_cbranch_execz .LBB0_25
; %bb.23:
	v_mul_lo_u32 v3, s3, v52
	v_mul_lo_u32 v4, s2, v53
	v_mad_co_u64_u32 v[0:1], null, s2, v52, 0
	v_mov_b32_e32 v51, 0
	v_lshlrev_b64_e32 v[11:12], 3, v[48:49]
	v_lshl_add_u32 v2, v50, 3, v59
	v_add_nc_u32_e32 v15, 0x4e, v50
	s_delay_alu instid0(VALU_DEP_4)
	v_dual_mov_b32 v14, v51 :: v_dual_add_nc_u32 v13, 39, v50
	v_add3_u32 v1, v1, v4, v3
	v_lshlrev_b64_e32 v[17:18], 3, v[50:51]
	v_mov_b32_e32 v16, v51
	ds_load_2addr_b64 v[3:6], v2 offset1:39
	ds_load_2addr_b64 v[7:10], v2 offset0:78 offset1:117
	v_lshlrev_b64_e32 v[0:1], 3, v[0:1]
	v_lshlrev_b64_e32 v[13:14], 3, v[13:14]
	v_dual_mov_b32 v20, v51 :: v_dual_add_nc_u32 v19, 0x9c, v50
	v_add_nc_u32_e32 v21, 0x15f, v50
	v_add_nc_u32_e32 v25, 0x800, v2
	v_add_co_u32 v0, vcc_lo, s6, v0
	s_wait_alu 0xfffd
	v_add_co_ci_u32_e32 v1, vcc_lo, s7, v1, vcc_lo
	v_mov_b32_e32 v22, v51
	s_delay_alu instid0(VALU_DEP_3) | instskip(SKIP_1) | instid1(VALU_DEP_3)
	v_add_co_u32 v0, vcc_lo, v0, v11
	s_wait_alu 0xfffd
	v_add_co_ci_u32_e32 v1, vcc_lo, v1, v12, vcc_lo
	v_lshlrev_b64_e32 v[11:12], 3, v[15:16]
	s_delay_alu instid0(VALU_DEP_3) | instskip(SKIP_1) | instid1(VALU_DEP_3)
	v_add_co_u32 v15, vcc_lo, v0, v17
	s_wait_alu 0xfffd
	v_add_co_ci_u32_e32 v16, vcc_lo, v1, v18, vcc_lo
	v_dual_mov_b32 v18, v51 :: v_dual_add_nc_u32 v17, 0x75, v50
	v_add_co_u32 v13, vcc_lo, v0, v13
	s_wait_alu 0xfffd
	v_add_co_ci_u32_e32 v14, vcc_lo, v1, v14, vcc_lo
	s_delay_alu instid0(VALU_DEP_3) | instskip(SKIP_4) | instid1(VALU_DEP_4)
	v_lshlrev_b64_e32 v[17:18], 3, v[17:18]
	v_add_co_u32 v11, vcc_lo, v0, v11
	s_wait_alu 0xfffd
	v_add_co_ci_u32_e32 v12, vcc_lo, v1, v12, vcc_lo
	v_mov_b32_e32 v26, v51
	v_add_co_u32 v17, vcc_lo, v0, v17
	s_wait_alu 0xfffd
	v_add_co_ci_u32_e32 v18, vcc_lo, v1, v18, vcc_lo
	s_wait_dscnt 0x1
	s_clause 0x1
	global_store_b64 v[15:16], v[3:4], off
	global_store_b64 v[13:14], v[5:6], off
	s_wait_dscnt 0x0
	s_clause 0x1
	global_store_b64 v[11:12], v[7:8], off
	global_store_b64 v[17:18], v[9:10], off
	v_lshlrev_b64_e32 v[7:8], 3, v[19:20]
	v_dual_mov_b32 v10, v51 :: v_dual_add_nc_u32 v9, 0xc3, v50
	v_dual_mov_b32 v18, v51 :: v_dual_add_nc_u32 v17, 0x400, v2
	ds_load_2addr_b64 v[3:6], v2 offset0:156 offset1:195
	v_add_co_u32 v13, vcc_lo, v0, v7
	v_dual_mov_b32 v12, v51 :: v_dual_add_nc_u32 v11, 0xea, v50
	s_wait_alu 0xfffd
	v_add_co_ci_u32_e32 v14, vcc_lo, v1, v8, vcc_lo
	v_lshlrev_b64_e32 v[15:16], 3, v[9:10]
	ds_load_2addr_b64 v[7:10], v17 offset0:106 offset1:145
	v_add_nc_u32_e32 v17, 0x111, v50
	v_lshlrev_b64_e32 v[11:12], 3, v[11:12]
	v_add_nc_u32_e32 v19, 0x138, v50
	v_add_co_u32 v15, vcc_lo, v0, v15
	s_delay_alu instid0(VALU_DEP_4)
	v_lshlrev_b64_e32 v[17:18], 3, v[17:18]
	s_wait_alu 0xfffd
	v_add_co_ci_u32_e32 v16, vcc_lo, v1, v16, vcc_lo
	v_add_co_u32 v11, vcc_lo, v0, v11
	s_wait_alu 0xfffd
	v_add_co_ci_u32_e32 v12, vcc_lo, v1, v12, vcc_lo
	v_add_co_u32 v17, vcc_lo, v0, v17
	s_wait_alu 0xfffd
	v_add_co_ci_u32_e32 v18, vcc_lo, v1, v18, vcc_lo
	s_wait_dscnt 0x1
	s_clause 0x1
	global_store_b64 v[13:14], v[3:4], off
	global_store_b64 v[15:16], v[5:6], off
	s_wait_dscnt 0x0
	s_clause 0x1
	global_store_b64 v[11:12], v[7:8], off
	global_store_b64 v[17:18], v[9:10], off
	v_mov_b32_e32 v12, v51
	v_lshlrev_b64_e32 v[19:20], 3, v[19:20]
	v_add_nc_u32_e32 v11, 0x186, v50
	v_dual_mov_b32 v14, v51 :: v_dual_add_nc_u32 v13, 0x1ad, v50
	ds_load_2addr_b64 v[3:6], v25 offset0:56 offset1:95
	v_add_co_u32 v15, vcc_lo, v0, v19
	s_wait_alu 0xfffd
	v_add_co_ci_u32_e32 v16, vcc_lo, v1, v20, vcc_lo
	v_mov_b32_e32 v20, v51
	v_lshlrev_b64_e32 v[7:8], 3, v[21:22]
	v_lshlrev_b64_e32 v[11:12], 3, v[11:12]
	v_add_nc_u32_e32 v19, 0x1d4, v50
	v_lshlrev_b64_e32 v[23:24], 3, v[13:14]
	s_delay_alu instid0(VALU_DEP_4)
	v_add_co_u32 v17, vcc_lo, v0, v7
	s_wait_alu 0xfffd
	v_add_co_ci_u32_e32 v18, vcc_lo, v1, v8, vcc_lo
	v_add_co_u32 v21, vcc_lo, v0, v11
	ds_load_2addr_b64 v[7:10], v25 offset0:134 offset1:173
	s_wait_alu 0xfffd
	v_add_co_ci_u32_e32 v22, vcc_lo, v1, v12, vcc_lo
	ds_load_2addr_b64 v[11:14], v25 offset0:212 offset1:251
	v_add_nc_u32_e32 v25, 0x1fb, v50
	v_lshlrev_b64_e32 v[19:20], 3, v[19:20]
	v_add_co_u32 v23, vcc_lo, v0, v23
	s_wait_alu 0xfffd
	v_add_co_ci_u32_e32 v24, vcc_lo, v1, v24, vcc_lo
	v_lshlrev_b64_e32 v[25:26], 3, v[25:26]
	s_delay_alu instid0(VALU_DEP_4) | instskip(SKIP_2) | instid1(VALU_DEP_3)
	v_add_co_u32 v19, vcc_lo, v0, v19
	s_wait_alu 0xfffd
	v_add_co_ci_u32_e32 v20, vcc_lo, v1, v20, vcc_lo
	v_add_co_u32 v25, vcc_lo, v0, v25
	s_wait_alu 0xfffd
	v_add_co_ci_u32_e32 v26, vcc_lo, v1, v26, vcc_lo
	v_cmp_eq_u32_e32 vcc_lo, 38, v50
	s_wait_dscnt 0x2
	s_clause 0x1
	global_store_b64 v[15:16], v[3:4], off
	global_store_b64 v[17:18], v[5:6], off
	s_wait_dscnt 0x1
	s_clause 0x1
	global_store_b64 v[21:22], v[7:8], off
	global_store_b64 v[23:24], v[9:10], off
	;; [unrolled: 4-line block ×3, first 2 shown]
	s_and_b32 exec_lo, exec_lo, vcc_lo
	s_cbranch_execz .LBB0_25
; %bb.24:
	ds_load_b64 v[2:3], v2 offset:4064
	s_wait_dscnt 0x0
	global_store_b64 v[0:1], v[2:3], off offset:4368
.LBB0_25:
	s_nop 0
	s_sendmsg sendmsg(MSG_DEALLOC_VGPRS)
	s_endpgm
	.section	.rodata,"a",@progbits
	.p2align	6, 0x0
	.amdhsa_kernel fft_rtc_back_len546_factors_13_3_7_2_wgs_117_tpt_39_halfLds_sp_op_CI_CI_unitstride_sbrr_R2C_dirReg
		.amdhsa_group_segment_fixed_size 0
		.amdhsa_private_segment_fixed_size 0
		.amdhsa_kernarg_size 104
		.amdhsa_user_sgpr_count 2
		.amdhsa_user_sgpr_dispatch_ptr 0
		.amdhsa_user_sgpr_queue_ptr 0
		.amdhsa_user_sgpr_kernarg_segment_ptr 1
		.amdhsa_user_sgpr_dispatch_id 0
		.amdhsa_user_sgpr_private_segment_size 0
		.amdhsa_wavefront_size32 1
		.amdhsa_uses_dynamic_stack 0
		.amdhsa_enable_private_segment 0
		.amdhsa_system_sgpr_workgroup_id_x 1
		.amdhsa_system_sgpr_workgroup_id_y 0
		.amdhsa_system_sgpr_workgroup_id_z 0
		.amdhsa_system_sgpr_workgroup_info 0
		.amdhsa_system_vgpr_workitem_id 0
		.amdhsa_next_free_vgpr 131
		.amdhsa_next_free_sgpr 39
		.amdhsa_reserve_vcc 1
		.amdhsa_float_round_mode_32 0
		.amdhsa_float_round_mode_16_64 0
		.amdhsa_float_denorm_mode_32 3
		.amdhsa_float_denorm_mode_16_64 3
		.amdhsa_fp16_overflow 0
		.amdhsa_workgroup_processor_mode 1
		.amdhsa_memory_ordered 1
		.amdhsa_forward_progress 0
		.amdhsa_round_robin_scheduling 0
		.amdhsa_exception_fp_ieee_invalid_op 0
		.amdhsa_exception_fp_denorm_src 0
		.amdhsa_exception_fp_ieee_div_zero 0
		.amdhsa_exception_fp_ieee_overflow 0
		.amdhsa_exception_fp_ieee_underflow 0
		.amdhsa_exception_fp_ieee_inexact 0
		.amdhsa_exception_int_div_zero 0
	.end_amdhsa_kernel
	.text
.Lfunc_end0:
	.size	fft_rtc_back_len546_factors_13_3_7_2_wgs_117_tpt_39_halfLds_sp_op_CI_CI_unitstride_sbrr_R2C_dirReg, .Lfunc_end0-fft_rtc_back_len546_factors_13_3_7_2_wgs_117_tpt_39_halfLds_sp_op_CI_CI_unitstride_sbrr_R2C_dirReg
                                        ; -- End function
	.section	.AMDGPU.csdata,"",@progbits
; Kernel info:
; codeLenInByte = 13932
; NumSgprs: 41
; NumVgprs: 131
; ScratchSize: 0
; MemoryBound: 0
; FloatMode: 240
; IeeeMode: 1
; LDSByteSize: 0 bytes/workgroup (compile time only)
; SGPRBlocks: 5
; VGPRBlocks: 16
; NumSGPRsForWavesPerEU: 41
; NumVGPRsForWavesPerEU: 131
; Occupancy: 10
; WaveLimiterHint : 1
; COMPUTE_PGM_RSRC2:SCRATCH_EN: 0
; COMPUTE_PGM_RSRC2:USER_SGPR: 2
; COMPUTE_PGM_RSRC2:TRAP_HANDLER: 0
; COMPUTE_PGM_RSRC2:TGID_X_EN: 1
; COMPUTE_PGM_RSRC2:TGID_Y_EN: 0
; COMPUTE_PGM_RSRC2:TGID_Z_EN: 0
; COMPUTE_PGM_RSRC2:TIDIG_COMP_CNT: 0
	.text
	.p2alignl 7, 3214868480
	.fill 96, 4, 3214868480
	.type	__hip_cuid_dedbc2e5963b8887,@object ; @__hip_cuid_dedbc2e5963b8887
	.section	.bss,"aw",@nobits
	.globl	__hip_cuid_dedbc2e5963b8887
__hip_cuid_dedbc2e5963b8887:
	.byte	0                               ; 0x0
	.size	__hip_cuid_dedbc2e5963b8887, 1

	.ident	"AMD clang version 19.0.0git (https://github.com/RadeonOpenCompute/llvm-project roc-6.4.0 25133 c7fe45cf4b819c5991fe208aaa96edf142730f1d)"
	.section	".note.GNU-stack","",@progbits
	.addrsig
	.addrsig_sym __hip_cuid_dedbc2e5963b8887
	.amdgpu_metadata
---
amdhsa.kernels:
  - .args:
      - .actual_access:  read_only
        .address_space:  global
        .offset:         0
        .size:           8
        .value_kind:     global_buffer
      - .offset:         8
        .size:           8
        .value_kind:     by_value
      - .actual_access:  read_only
        .address_space:  global
        .offset:         16
        .size:           8
        .value_kind:     global_buffer
      - .actual_access:  read_only
        .address_space:  global
        .offset:         24
        .size:           8
        .value_kind:     global_buffer
      - .actual_access:  read_only
        .address_space:  global
        .offset:         32
        .size:           8
        .value_kind:     global_buffer
      - .offset:         40
        .size:           8
        .value_kind:     by_value
      - .actual_access:  read_only
        .address_space:  global
        .offset:         48
        .size:           8
        .value_kind:     global_buffer
      - .actual_access:  read_only
        .address_space:  global
        .offset:         56
        .size:           8
        .value_kind:     global_buffer
      - .offset:         64
        .size:           4
        .value_kind:     by_value
      - .actual_access:  read_only
        .address_space:  global
        .offset:         72
        .size:           8
        .value_kind:     global_buffer
      - .actual_access:  read_only
        .address_space:  global
        .offset:         80
        .size:           8
        .value_kind:     global_buffer
      - .actual_access:  read_only
        .address_space:  global
        .offset:         88
        .size:           8
        .value_kind:     global_buffer
      - .actual_access:  write_only
        .address_space:  global
        .offset:         96
        .size:           8
        .value_kind:     global_buffer
    .group_segment_fixed_size: 0
    .kernarg_segment_align: 8
    .kernarg_segment_size: 104
    .language:       OpenCL C
    .language_version:
      - 2
      - 0
    .max_flat_workgroup_size: 117
    .name:           fft_rtc_back_len546_factors_13_3_7_2_wgs_117_tpt_39_halfLds_sp_op_CI_CI_unitstride_sbrr_R2C_dirReg
    .private_segment_fixed_size: 0
    .sgpr_count:     41
    .sgpr_spill_count: 0
    .symbol:         fft_rtc_back_len546_factors_13_3_7_2_wgs_117_tpt_39_halfLds_sp_op_CI_CI_unitstride_sbrr_R2C_dirReg.kd
    .uniform_work_group_size: 1
    .uses_dynamic_stack: false
    .vgpr_count:     131
    .vgpr_spill_count: 0
    .wavefront_size: 32
    .workgroup_processor_mode: 1
amdhsa.target:   amdgcn-amd-amdhsa--gfx1201
amdhsa.version:
  - 1
  - 2
...

	.end_amdgpu_metadata
